;; amdgpu-corpus repo=ROCm/aiter kind=harvested arch=n/a opt=n/a

/root/src/amdgpu-assembly/repos/ROCm__aiter/hsa/gfx942/fmha_v3_bwd/bwd_hd64_fp16_causal_a16.co:	file format elf64-amdgpu

Disassembly of section .text:

0000000000003e00 <_ZN5aiter29fmha_bwd_hd64_fp16_causal_a16E>:
	s_and_b32 s1, s1, 0xffff                                   // 000000003E00: 8601FF01 0000FFFF
	s_load_dwordx2 s[32:33], s[0:1], 0x0                       // 000000003E08: C0060800 00000000
	s_load_dwordx2 s[36:37], s[0:1], 0x10                      // 000000003E10: C0060900 00000010
	s_load_dwordx2 s[40:41], s[0:1], 0x20                      // 000000003E18: C0060A00 00000020
	s_load_dwordx2 s[8:9], s[0:1], 0x30                        // 000000003E20: C0060200 00000030
	s_load_dwordx2 s[12:13], s[0:1], 0x40                      // 000000003E28: C0060300 00000040
	s_load_dwordx2 s[16:17], s[0:1], 0x50                      // 000000003E30: C0060400 00000050
	s_load_dwordx2 s[20:21], s[0:1], 0x60                      // 000000003E38: C0060500 00000060
	s_load_dwordx2 s[24:25], s[0:1], 0x70                      // 000000003E40: C0060600 00000070
	s_load_dwordx2 s[28:29], s[0:1], 0x80                      // 000000003E48: C0060700 00000080
	s_load_dword s48, s[0:1], 0x90                             // 000000003E50: C0020C00 00000090
	s_load_dword s49, s[0:1], 0xa0                             // 000000003E58: C0020C40 000000A0
	s_load_dword s50, s[0:1], 0xb0                             // 000000003E60: C0020C80 000000B0
	s_load_dword s51, s[0:1], 0xc0                             // 000000003E68: C0020CC0 000000C0
	s_load_dword s52, s[0:1], 0xd0                             // 000000003E70: C0020D00 000000D0
	s_load_dword s53, s[0:1], 0xe0                             // 000000003E78: C0020D40 000000E0
	s_load_dword s70, s[0:1], 0xf0                             // 000000003E80: C0021180 000000F0
	s_load_dword s44, s[0:1], 0x100                            // 000000003E88: C0020B00 00000100
	s_load_dword s5, s[0:1], 0x110                             // 000000003E90: C0020140 00000110
	s_load_dword s6, s[0:1], 0x120                             // 000000003E98: C0020180 00000120
	s_load_dword s7, s[0:1], 0x130                             // 000000003EA0: C00201C0 00000130
	s_load_dword s46, s[0:1], 0x140                            // 000000003EA8: C0020B80 00000140
	s_load_dword s91, s[0:1], 0x180                            // 000000003EB0: C00216C0 00000180
	s_load_dword s90, s[0:1], 0x240                            // 000000003EB8: C0021680 00000240
	v_lshrrev_b32_e32 v1, 10, v0                               // 000000003EC0: 2002008A
	v_lshrrev_b32_e32 v2, 10, v1                               // 000000003EC4: 2004028A
	v_and_b32_e32 v2, 0x3ff, v2                                // 000000003EC8: 260404FF 000003FF
	v_and_b32_e32 v1, 0x3ff, v1                                // 000000003ED0: 260202FF 000003FF
	v_and_b32_e32 v0, 0x3ff, v0                                // 000000003ED8: 260000FF 000003FF
	v_lshrrev_b32_e32 v3, 6, v0                                // 000000003EE0: 20060086
	v_and_b32_e32 v0, 63, v0                                   // 000000003EE4: 260000BF
	s_mov_b32 s2, s2                                           // 000000003EE8: BE820002
	s_mov_b32 s3, s3                                           // 000000003EEC: BE830003
	s_mov_b32 s4, s4                                           // 000000003EF0: BE840004
	v_readfirstlane_b32 s47, v3                                // 000000003EF4: 7E5E0503
	s_waitcnt lgkmcnt(0)                                       // 000000003EF8: BF8CC07F
	s_mov_b32 s10, 0x80000000                                  // 000000003EFC: BE8A00FF 80000000
	s_mov_b32 s14, 0x80000000                                  // 000000003F04: BE8E00FF 80000000
	s_mov_b32 s18, 0x80000000                                  // 000000003F0C: BE9200FF 80000000
	s_mov_b32 s22, 0x80000000                                  // 000000003F14: BE9600FF 80000000
	s_mov_b32 s26, 0x80000000                                  // 000000003F1C: BE9A00FF 80000000
	s_mov_b32 s30, 0x80000000                                  // 000000003F24: BE9E00FF 80000000
	s_mov_b32 s34, 0x80000000                                  // 000000003F2C: BEA200FF 80000000
	s_mov_b32 s38, 0x80000000                                  // 000000003F34: BEA600FF 80000000
	s_mov_b32 s42, 0x80000000                                  // 000000003F3C: BEAA00FF 80000000
	s_mov_b32 s11, 0x20000                                     // 000000003F44: BE8B00FF 00020000
	s_mov_b32 s15, 0x20000                                     // 000000003F4C: BE8F00FF 00020000
	s_mov_b32 s19, 0x20000                                     // 000000003F54: BE9300FF 00020000
	s_mov_b32 s23, 0x20000                                     // 000000003F5C: BE9700FF 00020000
	s_mov_b32 s27, 0x20000                                     // 000000003F64: BE9B00FF 00020000
	s_mov_b32 s31, 0x20000                                     // 000000003F6C: BE9F00FF 00020000
	s_mov_b32 s35, 0x20000                                     // 000000003F74: BEA300FF 00020000
	s_mov_b32 s39, 0x20000                                     // 000000003F7C: BEA700FF 00020000
	s_mov_b32 s43, 0x20000                                     // 000000003F84: BEAB00FF 00020000
	s_and_b32 s9, s9, 0xffff                                   // 000000003F8C: 8609FF09 0000FFFF
	s_and_b32 s13, s13, 0xffff                                 // 000000003F94: 860DFF0D 0000FFFF
	s_and_b32 s17, s17, 0xffff                                 // 000000003F9C: 8611FF11 0000FFFF
	s_and_b32 s21, s21, 0xffff                                 // 000000003FA4: 8615FF15 0000FFFF
	s_and_b32 s25, s25, 0xffff                                 // 000000003FAC: 8619FF19 0000FFFF
	s_and_b32 s29, s29, 0xffff                                 // 000000003FB4: 861DFF1D 0000FFFF
	s_and_b32 s33, s33, 0xffff                                 // 000000003FBC: 8621FF21 0000FFFF
	s_and_b32 s37, s37, 0xffff                                 // 000000003FC4: 8625FF25 0000FFFF
	s_and_b32 s41, s41, 0xffff                                 // 000000003FCC: 8629FF29 0000FFFF
	s_or_b32 s9, s9, 0x40000                                   // 000000003FD4: 8709FF09 00040000
	s_or_b32 s13, s13, 0x40000                                 // 000000003FDC: 870DFF0D 00040000
	s_or_b32 s17, s17, 0x40000                                 // 000000003FE4: 8711FF11 00040000
	s_or_b32 s21, s21, 0x40000                                 // 000000003FEC: 8715FF15 00040000
	s_or_b32 s25, s25, 0x40000                                 // 000000003FF4: 8719FF19 00040000
	s_or_b32 s29, s29, 0x40000                                 // 000000003FFC: 871DFF1D 00040000
	s_or_b32 s33, s33, 0x40000                                 // 000000004004: 8721FF21 00040000
	s_or_b32 s37, s37, 0x40000                                 // 00000000400C: 8725FF25 00040000
	s_or_b32 s41, s41, 0x40000                                 // 000000004014: 8729FF29 00040000
	v_accvgpr_write_b32 a159, 0                                // 00000000401C: D3D9409F 18000080
	v_mov_b32_e32 v227, 0                                      // 000000004024: 7FC60280
	s_mov_b32 s80, s8                                          // 000000004028: BED00008
	s_mov_b32 s82, s12                                         // 00000000402C: BED2000C
	s_mov_b32 s84, s16                                         // 000000004030: BED40010
	s_mov_b32 s86, s20                                         // 000000004034: BED60014
	s_mov_b32 s88, s32                                         // 000000004038: BED80020
	s_mov_b32 s81, s9                                          // 00000000403C: BED10009
	s_mov_b32 s83, s13                                         // 000000004040: BED3000D
	s_mov_b32 s85, s17                                         // 000000004044: BED50011
	s_mov_b32 s87, s21                                         // 000000004048: BED70015
	s_mov_b32 s89, s33                                         // 00000000404C: BED90021
	s_mov_b32 s71, s3                                          // 000000004050: BEC70003
	v_cvt_f32_u32_e32 v32, s44                                 // 000000004054: 7E400C2C
	s_sub_i32 s60, 0, s44                                      // 000000004058: 81BC2C80
	v_rcp_iflag_f32_e32 v32, v32                               // 00000000405C: 7E404720
	s_nop 0                                                    // 000000004060: BF800000
	v_mul_f32_e32 v32, 0x4f7ffffe, v32                         // 000000004064: 0A4040FF 4F7FFFFE
	v_cvt_u32_f32_e32 v32, v32                                 // 00000000406C: 7E400F20
	v_mul_lo_u32 v33, s60, v32                                 // 000000004070: D2850021 0002403C
	v_mul_hi_u32 v33, v32, v33                                 // 000000004078: D2860021 00024320
	v_add_u32_e32 v32, v32, v33                                // 000000004080: 68404320
	v_mul_hi_u32 v32, s71, v32                                 // 000000004084: D2860020 00024047
	v_mul_lo_u32 v33, v32, s44                                 // 00000000408C: D2850021 00005920
	v_sub_u32_e32 v35, s71, v33                                // 000000004094: 6A464247
	v_add_u32_e32 v34, 1, v32                                  // 000000004098: 68444081
	v_cmp_le_u32_e32 vcc, s44, v35                             // 00000000409C: 7D96462C
	v_subrev_u32_e32 v33, s44, v35                             // 0000000040A0: 6C42462C
	s_nop 0                                                    // 0000000040A4: BF800000
	v_cndmask_b32_e32 v32, v32, v34, vcc                       // 0000000040A8: 00404520
	v_cndmask_b32_e32 v35, v35, v33, vcc                       // 0000000040AC: 00464323
	v_add_u32_e32 v33, 1, v32                                  // 0000000040B0: 68424081
	v_cmp_le_u32_e32 vcc, s44, v35                             // 0000000040B4: 7D96462C
	s_nop 1                                                    // 0000000040B8: BF800001
	v_cndmask_b32_e32 v35, v32, v33, vcc                       // 0000000040BC: 00464320
	s_nop 3                                                    // 0000000040C0: BF800003
	v_readfirstlane_b32 s45, v35                               // 0000000040C4: 7E5A0523
	s_nop 3                                                    // 0000000040C8: BF800003
	s_add_u32 s71, 0x80, s50                                   // 0000000040CC: 804732FF 00000080
	s_mov_b32 s74, 0xc0                                        // 0000000040D4: BECA00FF 000000C0
	v_cvt_f32_u32_e32 v32, s74                                 // 0000000040DC: 7E400C4A
	s_sub_i32 s60, 0, s74                                      // 0000000040E0: 81BC4A80
	v_rcp_iflag_f32_e32 v32, v32                               // 0000000040E4: 7E404720
	s_nop 0                                                    // 0000000040E8: BF800000
	v_mul_f32_e32 v32, 0x4f7ffffe, v32                         // 0000000040EC: 0A4040FF 4F7FFFFE
	v_cvt_u32_f32_e32 v32, v32                                 // 0000000040F4: 7E400F20
	v_mul_lo_u32 v33, s60, v32                                 // 0000000040F8: D2850021 0002403C
	v_mul_hi_u32 v33, v32, v33                                 // 000000004100: D2860021 00024320
	v_add_u32_e32 v32, v32, v33                                // 000000004108: 68404320
	v_mul_hi_u32 v32, s71, v32                                 // 00000000410C: D2860020 00024047
	v_mul_lo_u32 v33, v32, s74                                 // 000000004114: D2850021 00009520
	v_sub_u32_e32 v35, s71, v33                                // 00000000411C: 6A464247
	v_add_u32_e32 v34, 1, v32                                  // 000000004120: 68444081
	v_cmp_le_u32_e32 vcc, s74, v35                             // 000000004124: 7D96464A
	v_subrev_u32_e32 v33, s74, v35                             // 000000004128: 6C42464A
	s_nop 0                                                    // 00000000412C: BF800000
	v_cndmask_b32_e32 v32, v32, v34, vcc                       // 000000004130: 00404520
	v_cndmask_b32_e32 v35, v35, v33, vcc                       // 000000004134: 00464323
	v_add_u32_e32 v33, 1, v32                                  // 000000004138: 68424081
	v_cmp_le_u32_e32 vcc, s74, v35                             // 00000000413C: 7D96464A
	s_nop 1                                                    // 000000004140: BF800001
	v_cndmask_b32_e32 v35, v32, v33, vcc                       // 000000004144: 00464320
	s_nop 3                                                    // 000000004148: BF800003
	v_readfirstlane_b32 s77, v35                               // 00000000414C: 7E9A0523
	s_nop 3                                                    // 000000004150: BF800003
	v_mov_b32_e32 v32, s48                                     // 000000004154: 7E400230
	v_mul_f32_e32 v32, s49, v32                                // 000000004158: 0A404031
	s_mov_b32 s66, 0                                           // 00000000415C: BEC20080
	s_mov_b32 s58, s50                                         // 000000004160: BEBA0032
	s_mov_b32 s59, 0                                           // 000000004164: BEBB0080
	s_mov_b32 s63, 0x5040100                                   // 000000004168: BEBF00FF 05040100
	s_mov_b32 s64, 0x7060302                                   // 000000004170: BEC000FF 07060302
	v_readfirstlane_b32 s57, v32                               // 000000004178: 7E720520
	v_mov_b32_e32 v34, 0x3020706                               // 00000000417C: 7E4402FF 03020706
	v_mov_b32_e32 v32, s63                                     // 000000004184: 7E40023F
	v_and_b32_e32 v33, 1, v0                                   // 000000004188: 26420081
	v_cmp_eq_u32_e32 vcc, 1, v33                               // 00000000418C: 7D944281
	s_mul_i32 s67, 32, s70                                     // 000000004190: 924346A0
	v_cndmask_b32_e32 v17, v32, v34, vcc                       // 000000004194: 00224520
	s_cmp_lt_u32 s47, 2                                        // 000000004198: BF0A822F
	s_cselect_b32 s24, s24, s28                                // 00000000419C: 85181C18
	s_cselect_b32 s25, s25, s29                                // 0000000041A0: 85191D19
	s_cselect_b32 s26, s26, s30                                // 0000000041A4: 851A1E1A
	s_cselect_b32 s27, s27, s31                                // 0000000041A8: 851B1F1B
	s_lshr_b32 s60, s47, 1                                     // 0000000041AC: 8F3C812F
	s_lshl_b32 s60, s60, 8                                     // 0000000041B0: 8E3C883C
	s_add_u32 s78, 0x8b00, s60                                 // 0000000041B4: 804E3CFF 00008B00
	s_add_u32 s79, 0x200, s78                                  // 0000000041BC: 804F4EFF 00000200
	s_mov_b32 s75, 0                                           // 0000000041C4: BECB0080
	s_mov_b32 s76, 1                                           // 0000000041C8: BECC0081
	s_lshl_b32 s60, s2, 1                                      // 0000000041CC: 8E3C8102
	s_add_u32 s60, 1, s60                                      // 0000000041D0: 803C3C81
	s_mul_i32 s60, 0xc0, s60                                   // 0000000041D4: 923C3CFF 000000C0
	s_cmp_ge_i32 s60, s50                                      // 0000000041DC: BF03323C
	s_cselect_b32 s76, s76, 2                                  // 0000000041E0: 854C824C

00000000000041e4 <label_00F9>:
	s_mov_b32 m0, s78                                          // 0000000041E4: BEFC004E
	s_mov_b32 s66, 0                                           // 0000000041E8: BEC20080
	v_mov_b32_e32 v178, 0xff800000                             // 0000000041EC: 7F6402FF FF800000
	s_mov_b32 s74, 0                                           // 0000000041F4: BECA0080
	s_mul_i32 s68, 32, s70                                     // 0000000041F8: 924446A0
	s_mov_b32 s69, 32                                          // 0000000041FC: BEC500A0
	s_mul_i32 s60, s2, s51                                     // 000000004200: 923C3302
	s_mul_i32 s61, s45, s5                                     // 000000004204: 923D052D
	s_mul_i32 s62, s4, s6                                      // 000000004208: 923E0604
	s_add_u32 s54, s60, s61                                    // 00000000420C: 80363D3C
	s_add_u32 s54, s54, s62                                    // 000000004210: 80363E36
	s_mul_i32 s61, s3, s52                                     // 000000004214: 923D3403
	s_mul_i32 s62, s4, s53                                     // 000000004218: 923E3504
	s_add_u32 s55, s61, s62                                    // 00000000421C: 80373E3D
	s_mul_i32 s60, 0xc0, s2                                    // 000000004220: 923C02FF 000000C0
	s_mul_i32 s60, s70, s60                                    // 000000004228: 923C3C46
	s_add_u32 s55, s60, s55                                    // 00000000422C: 8037373C
	s_mov_b32 s56, s55                                         // 000000004230: BEB80037
	s_mul_i32 s59, 0xc0, s2                                    // 000000004234: 923B02FF 000000C0
	s_add_u32 s73, 32, s59                                     // 00000000423C: 80493BA0
	s_mul_i32 s62, s4, s91                                     // 000000004240: 923E5B04
	s_mul_i32 s62, s62, s90                                    // 000000004244: 923E5A3E
	s_mul_i32 s61, s3, s90                                     // 000000004248: 923D5A03
	s_add_u32 s65, s61, s62                                    // 00000000424C: 80413E3D
	s_mul_i32 s60, 0x300, s2                                   // 000000004250: 923C02FF 00000300
	s_add_u32 s65, s60, s65                                    // 000000004258: 8041413C
	s_mov_b32 s71, s7                                          // 00000000425C: BEC70007
	v_lshrrev_b32_e32 v32, 4, v0                               // 000000004260: 20400084
	v_and_b32_e32 v33, 1, v32                                  // 000000004264: 26424081
	v_lshlrev_b32_e32 v33, 1, v33                              // 000000004268: 24424281
	v_mul_i32_i24_e32 v33, s71, v33                            // 00000000426C: 0C424247
	v_and_b32_e32 v34, 2, v32                                  // 000000004270: 26444082
	v_lshlrev_b32_e32 v34, 5, v34                              // 000000004274: 24444485
	v_add_u32_e32 v33, v34, v33                                // 000000004278: 68424322
	v_and_b32_e32 v32, 15, v0                                  // 00000000427C: 2640008F
	v_lshlrev_b32_e32 v32, 2, v32                              // 000000004280: 24404082
	v_add_u32_e32 v1, v32, v33                                 // 000000004284: 68024320
	s_mul_i32 s60, s47, s71                                    // 000000004288: 923C472F
	s_mul_i32 s60, s60, 4                                      // 00000000428C: 923C843C
	v_add_u32_e32 v1, s60, v1                                  // 000000004290: 6802023C
	v_add_u32_e32 v2, s71, v1                                  // 000000004294: 68040247
	s_mul_i32 s60, 16, s71                                     // 000000004298: 923C4790
	v_add_u32_e32 v3, s60, v1                                  // 00000000429C: 6806023C
	v_add_u32_e32 v4, s60, v2                                  // 0000000042A0: 6808043C
	v_lshrrev_b32_e32 v1, 2, v1                                // 0000000042A4: 20020282
	v_lshrrev_b32_e32 v2, 2, v2                                // 0000000042A8: 20040482
	s_add_u32 s12, s54, s82                                    // 0000000042AC: 800C5236
	s_addc_u32 s13, 0, s83                                     // 0000000042B0: 820D5380
	s_add_u32 s16, s54, s84                                    // 0000000042B4: 80105436
	s_addc_u32 s17, 0, s85                                     // 0000000042B8: 82115580
	s_add_u32 s8, s55, s80                                     // 0000000042BC: 80085037
	s_addc_u32 s9, 0, s81                                      // 0000000042C0: 82095180
	s_add_u32 s20, s56, s86                                    // 0000000042C4: 80145638
	s_addc_u32 s21, 0, s87                                     // 0000000042C8: 82155780
	v_and_b32_e32 v11, 31, v0                                  // 0000000042CC: 2616009F
	v_lshlrev_b32_e32 v11, 2, v11                              // 0000000042D0: 24161682
	v_add_u32_e32 v11, s65, v11                                // 0000000042D4: 68161641
	v_lshrrev_b32_e32 v11, 2, v11                              // 0000000042D8: 20161682
	v_lshrrev_b32_e32 v32, 3, v0                               // 0000000042DC: 20400083
	v_mul_i32_i24_e32 v5, s46, v32                             // 0000000042E0: 0C0A402E
	v_lshrrev_b32_e32 v5, 2, v5                                // 0000000042E4: 200A0A82
	v_and_b32_e32 v32, 7, v0                                   // 0000000042E8: 26400087
	v_lshlrev_b32_e32 v33, 2, v32                              // 0000000042EC: 24424082
	v_add_u32_e32 v5, v33, v5                                  // 0000000042F0: 680A0B21
	s_mul_i32 s60, 16, s46                                     // 0000000042F4: 923C2E90
	s_mul_i32 s60, s47, s60                                    // 0000000042F8: 923C3C2F
	v_lshlrev_b32_e32 v5, 2, v5                                // 0000000042FC: 240A0A82
	v_add_u32_e32 v5, s60, v5                                  // 000000004300: 680A0A3C
	s_mul_i32 s60, 0xc0, s46                                   // 000000004304: 923C2EFF 000000C0
	s_mul_i32 s60, s2, s60                                     // 00000000430C: 923C3C02
	s_mul_i32 s61, s3, s5                                      // 000000004310: 923D0503
	s_mul_i32 s62, s4, s6                                      // 000000004314: 923E0604
	s_mul_i32 s62, s62, s44                                    // 000000004318: 923E2C3E
	s_add_u32 s60, s60, s61                                    // 00000000431C: 803C3D3C
	s_add_u32 s60, s60, s62                                    // 000000004320: 803C3E3C
	v_add_u32_e32 v5, s60, v5                                  // 000000004324: 680A0A3C
	v_lshrrev_b32_e32 v5, 2, v5                                // 000000004328: 200A0A82
	v_mov_b32_e32 v6, v5                                       // 00000000432C: 7E0C0305
	v_lshrrev_b32_e32 v32, 5, v0                               // 000000004330: 20400085
	v_mul_i32_i24_e32 v7, s70, v32                             // 000000004334: 0C0E4046
	v_lshrrev_b32_e32 v7, 2, v7                                // 000000004338: 200E0E82
	v_and_b32_e32 v32, 31, v0                                  // 00000000433C: 2640009F
	v_add_u32_e32 v7, v32, v7                                  // 000000004340: 680E0F20
	s_mul_i32 s60, s70, 2                                      // 000000004344: 923C8246
	s_mul_i32 s60, s47, s60                                    // 000000004348: 923C3C2F
	v_add_u32_e32 v7, s60, v7                                  // 00000000434C: 680E0E3C
	v_lshlrev_b32_e32 v7, 2, v7                                // 000000004350: 240E0E82
	s_mul_i32 s60, 2, s70                                      // 000000004354: 923C4682
	v_add_u32_e32 v8, s60, v7                                  // 000000004358: 68100E3C
	v_add_u32_e32 v9, s60, v8                                  // 00000000435C: 6812103C
	v_add_u32_e32 v10, s60, v9                                 // 000000004360: 6814123C
	s_mov_b32 s60, s55                                         // 000000004364: BEBC0037
	v_add_u32_e32 v7, s60, v7                                  // 000000004368: 680E0E3C
	v_lshrrev_b32_e32 v7, 2, v7                                // 00000000436C: 200E0E82
	v_add_u32_e32 v8, s60, v8                                  // 000000004370: 6810103C
	v_lshrrev_b32_e32 v8, 2, v8                                // 000000004374: 20101082
	v_add_u32_e32 v9, s60, v9                                  // 000000004378: 6812123C
	v_lshrrev_b32_e32 v9, 2, v9                                // 00000000437C: 20121282
	v_add_u32_e32 v10, s60, v10                                // 000000004380: 6814143C
	v_lshrrev_b32_e32 v10, 2, v10                              // 000000004384: 20141482
	s_mul_i32 s60, 3, s2                                       // 000000004388: 923C0283
	s_lshr_b32 s61, s50, 6                                     // 00000000438C: 8F3D8632
	s_sub_i32 s72, s61, s60                                    // 000000004390: 81C83C3D
	s_cmp_lt_i32 s72, 3                                        // 000000004394: BF048348
	s_cselect_b32 s72, s72, 3                                  // 000000004398: 85488348
	v_and_b32_e32 v32, 31, v0                                  // 00000000439C: 2640009F
	v_lshrrev_b32_e32 v32, 1, v32                              // 0000000043A0: 20404081
	v_and_b32_e32 v33, 1, v32                                  // 0000000043A4: 26424081
	v_lshlrev_b32_e32 v33, 4, v33                              // 0000000043A8: 24424284
	v_and_b32_e32 v34, 2, v32                                  // 0000000043AC: 26444082
	v_lshlrev_b32_e32 v34, 2, v34                              // 0000000043B0: 24444482
	v_add_u32_e32 v33, v34, v33                                // 0000000043B4: 68424322
	v_and_b32_e32 v34, 12, v32                                 // 0000000043B8: 2644408C
	v_lshrrev_b32_e32 v34, 1, v34                              // 0000000043BC: 20444481
	v_add_u32_e32 v33, v34, v33                                // 0000000043C0: 68424322
	v_lshrrev_b32_e32 v32, 5, v0                               // 0000000043C4: 20400085
	v_mul_i32_i24_e32 v34, 0x80, v32                           // 0000000043C8: 0C4440FF 00000080
	v_add_u32_e32 v33, v34, v33                                // 0000000043D0: 68424322
	v_and_b32_e32 v34, 1, v0                                   // 0000000043D4: 26440081
	v_add_u32_e32 v13, v34, v33                                // 0000000043D8: 681A4322
	s_mul_i32 s60, s47, 32                                     // 0000000043DC: 923CA02F
	v_add_u32_e32 v13, s60, v13                                // 0000000043E0: 681A1A3C
	v_lshlrev_b32_e32 v13, 2, v13                              // 0000000043E4: 241A1A82
	v_lshrrev_b32_e32 v32, 4, v0                               // 0000000043E8: 20400084
	v_and_b32_e32 v33, 1, v32                                  // 0000000043EC: 26424081
	v_lshlrev_b32_e32 v33, 4, v33                              // 0000000043F0: 24424284
	v_and_b32_e32 v34, 2, v32                                  // 0000000043F4: 26444082
	v_mul_i32_i24_e32 v34, 4, v34                              // 0000000043F8: 0C444484
	v_add_u32_e32 v33, v34, v33                                // 0000000043FC: 68424322
	v_and_b32_e32 v32, 15, v0                                  // 000000004400: 2640008F
	v_lshrrev_b32_e32 v34, 2, v32                              // 000000004404: 20444082
	v_lshlrev_b32_e32 v34, 5, v34                              // 000000004408: 24444485
	v_add_u32_e32 v33, v34, v33                                // 00000000440C: 68424322
	v_and_b32_e32 v32, 3, v0                                   // 000000004410: 26400083
	v_and_b32_e32 v34, 1, v32                                  // 000000004414: 26444081
	v_mul_i32_i24_e32 v34, 0x108, v34                          // 000000004418: 0C4444FF 00000108
	v_add_u32_e32 v33, v34, v33                                // 000000004420: 68424322
	v_and_b32_e32 v34, 2, v32                                  // 000000004424: 26444082
	v_lshlrev_b32_e32 v34, 1, v34                              // 000000004428: 24444481
	v_add_u32_e32 v12, v34, v33                                // 00000000442C: 68184322
	v_lshlrev_b32_e32 v12, 2, v12                              // 000000004430: 24181882
	s_mul_i32 s60, s47, 0x880                                  // 000000004434: 923CFF2F 00000880
	v_add_u32_e32 v24, s60, v12                                // 00000000443C: 6830183C
	v_lshrrev_b32_e32 v32, 5, v0                               // 000000004440: 20400085
	v_mul_i32_i24_e32 v15, 0x80, v32                           // 000000004444: 0C1E40FF 00000080
	v_and_b32_e32 v32, 31, v0                                  // 00000000444C: 2640009F
	v_and_b32_e32 v33, 7, v32                                  // 000000004450: 26424087
	v_and_b32_e32 v34, 1, v33                                  // 000000004454: 26444281
	v_lshlrev_b32_e32 v34, 2, v34                              // 000000004458: 24444482
	v_add_u32_e32 v15, v34, v15                                // 00000000445C: 681E1F22
	v_and_b32_e32 v34, 2, v33                                  // 000000004460: 26444282
	v_lshlrev_b32_e32 v34, 3, v34                              // 000000004464: 24444483
	v_add_u32_e32 v15, v34, v15                                // 000000004468: 681E1F22
	v_and_b32_e32 v34, 4, v33                                  // 00000000446C: 26444284
	v_lshlrev_b32_e32 v34, 1, v34                              // 000000004470: 24444481
	v_add_u32_e32 v15, v34, v15                                // 000000004474: 681E1F22
	v_lshrrev_b32_e32 v33, 3, v32                              // 000000004478: 20424083
	v_and_b32_e32 v34, 1, v33                                  // 00000000447C: 26444281
	v_lshlrev_b32_e32 v34, 1, v34                              // 000000004480: 24444481
	v_add_u32_e32 v15, v34, v15                                // 000000004484: 681E1F22
	v_and_b32_e32 v34, 2, v33                                  // 000000004488: 26444282
	v_lshrrev_b32_e32 v34, 1, v34                              // 00000000448C: 20444481
	v_add_u32_e32 v15, v34, v15                                // 000000004490: 681E1F22
	s_mul_i32 s60, s47, 32                                     // 000000004494: 923CA02F
	v_add_u32_e32 v15, s60, v15                                // 000000004498: 681E1E3C
	v_lshlrev_b32_e32 v15, 2, v15                              // 00000000449C: 241E1E82
	v_and_b32_e32 v32, 15, v0                                  // 0000000044A0: 2640008F
	v_and_b32_e32 v34, 1, v32                                  // 0000000044A4: 26444081
	v_mul_i32_i24_e32 v14, 0x108, v34                          // 0000000044A8: 0C1C44FF 00000108
	v_and_b32_e32 v34, 2, v32                                  // 0000000044B0: 26444082
	v_lshlrev_b32_e32 v34, 1, v34                              // 0000000044B4: 24444481
	v_add_u32_e32 v14, v34, v14                                // 0000000044B8: 681C1D22
	v_and_b32_e32 v34, 4, v32                                  // 0000000044BC: 26444084
	v_lshlrev_b32_e32 v34, 2, v34                              // 0000000044C0: 24444482
	v_add_u32_e32 v14, v34, v14                                // 0000000044C4: 681C1D22
	v_and_b32_e32 v34, 8, v32                                  // 0000000044C8: 26444088
	v_add_u32_e32 v14, v34, v14                                // 0000000044CC: 681C1D22
	v_lshrrev_b32_e32 v32, 4, v0                               // 0000000044D0: 20400084
	v_and_b32_e32 v34, 1, v32                                  // 0000000044D4: 26444081
	v_lshlrev_b32_e32 v34, 5, v34                              // 0000000044D8: 24444485
	v_add_u32_e32 v14, v34, v14                                // 0000000044DC: 681C1D22
	v_and_b32_e32 v33, 2, v32                                  // 0000000044E0: 26424082
	v_mul_i32_i24_e32 v34, 32, v33                             // 0000000044E4: 0C4442A0
	v_mul_i32_i24_e32 v33, 0x110, v33                          // 0000000044E8: 0C4242FF 00000110
	v_add_u32_e32 v25, v33, v14                                // 0000000044F0: 68321D21
	v_add_u32_e32 v14, v34, v14                                // 0000000044F4: 681C1D22
	v_lshlrev_b32_e32 v14, 2, v14                              // 0000000044F8: 241C1C82
	v_lshlrev_b32_e32 v25, 2, v25                              // 0000000044FC: 24323282
	s_and_b32 s60, 1, s47                                      // 000000004500: 863C2F81
	s_mul_i32 s60, s60, 0x200                                  // 000000004504: 923CFF3C 00000200
	v_add_u32_e32 v25, s60, v25                                // 00000000450C: 6832323C
	v_lshrrev_b32_e32 v32, 4, v0                               // 000000004510: 20400084
	v_mul_i32_i24_e32 v23, 4, v32                              // 000000004514: 0C2E4084
	v_and_b32_e32 v33, 3, v0                                   // 000000004518: 26420083
	v_add_u32_e32 v23, v33, v23                                // 00000000451C: 682E2F21
	v_lshlrev_b32_e32 v23, 2, v23                              // 000000004520: 242E2E82
	v_lshrrev_b32_e32 v32, 5, v0                               // 000000004524: 20400085
	v_mul_i32_i24_e32 v21, 2, v32                              // 000000004528: 0C2A4082
	v_and_b32_e32 v32, 31, v0                                  // 00000000452C: 2640009F
	v_lshrrev_b32_e32 v32, 1, v32                              // 000000004530: 20404081
	v_mul_i32_i24_e32 v33, 34, v32                             // 000000004534: 0C4240A2
	v_add_u32_e32 v21, v33, v21                                // 000000004538: 682A2B21
	v_and_b32_e32 v33, 1, v0                                   // 00000000453C: 26420081
	v_add_u32_e32 v21, v33, v21                                // 000000004540: 682A2B21
	s_and_b32 s60, 1, s47                                      // 000000004544: 863C2F81
	s_mul_i32 s60, s60, 16                                     // 000000004548: 923C903C
	s_lshr_b32 s61, s47, 1                                     // 00000000454C: 8F3D812F
	s_mul_i32 s61, s61, 0x220                                  // 000000004550: 923DFF3D 00000220
	s_add_u32 s60, s60, s61                                    // 000000004558: 803C3D3C
	v_add_u32_e32 v21, s60, v21                                // 00000000455C: 682A2A3C
	v_lshlrev_b32_e32 v21, 2, v21                              // 000000004560: 242A2A82
	v_lshrrev_b32_e32 v32, 4, v0                               // 000000004564: 20400084
	v_mul_i32_i24_e32 v22, 34, v32                             // 000000004568: 0C2C40A2
	v_and_b32_e32 v32, 15, v0                                  // 00000000456C: 2640008F
	v_mul_i32_i24_e32 v33, 2, v32                              // 000000004570: 0C424082
	v_add_u32_e32 v22, v33, v22                                // 000000004574: 682C2D21
	s_mul_i32 s60, s47, 0x110                                  // 000000004578: 923CFF2F 00000110
	v_add_u32_e32 v22, s60, v22                                // 000000004580: 682C2C3C
	v_lshlrev_b32_e32 v22, 2, v22                              // 000000004584: 242C2C82
	v_lshrrev_b32_e32 v32, 5, v0                               // 000000004588: 20400085
	v_mul_i32_i24_e32 v19, 64, v32                             // 00000000458C: 0C2640C0
	v_and_b32_e32 v32, 31, v0                                  // 000000004590: 2640009F
	v_and_b32_e32 v32, 3, v32                                  // 000000004594: 26404083
	v_and_b32_e32 v33, 1, v32                                  // 000000004598: 26424081
	v_mul_i32_i24_e32 v33, 4, v33                              // 00000000459C: 0C424284
	v_add_u32_e32 v19, v33, v19                                // 0000000045A0: 68262721
	v_and_b32_e32 v33, 2, v32                                  // 0000000045A4: 26424082
	v_mul_i32_i24_e32 v33, 0x44, v33                           // 0000000045A8: 0C4242FF 00000044
	v_add_u32_e32 v19, v33, v19                                // 0000000045B0: 68262721
	v_and_b32_e32 v32, 31, v0                                  // 0000000045B4: 2640009F
	v_lshrrev_b32_e32 v32, 2, v32                              // 0000000045B8: 20404082
	v_lshrrev_b32_e32 v34, 2, v32                              // 0000000045BC: 20444082
	v_mul_i32_i24_e32 v33, 16, v34                             // 0000000045C0: 0C424490
	v_add_u32_e32 v19, v33, v19                                // 0000000045C4: 68262721
	v_and_b32_e32 v33, 2, v32                                  // 0000000045C8: 26424082
	v_lshlrev_b32_e32 v33, 4, v33                              // 0000000045CC: 24424284
	v_add_u32_e32 v19, v33, v19                                // 0000000045D0: 68262721
	v_and_b32_e32 v33, 1, v32                                  // 0000000045D4: 26424081
	v_xor_b32_e32 v33, v34, v33                                // 0000000045D8: 2A424322
	v_mul_i32_i24_e32 v33, 8, v33                              // 0000000045DC: 0C424288
	v_add_u32_e32 v19, v33, v19                                // 0000000045E0: 68262721
	s_lshr_b32 s60, s47, 1                                     // 0000000045E4: 8F3C812F
	s_mul_i32 s60, s60, 0x6c0                                  // 0000000045E8: 923CFF3C 000006C0
	v_add_u32_e32 v19, s60, v19                                // 0000000045F0: 6826263C
	v_lshlrev_b32_e32 v19, 2, v19                              // 0000000045F4: 24262682
	v_lshrrev_b32_e32 v32, 5, v0                               // 0000000045F8: 20400085
	v_mul_i32_i24_e32 v20, 32, v32                             // 0000000045FC: 0C2840A0
	v_and_b32_e32 v32, 31, v0                                  // 000000004600: 2640009F
	v_and_b32_e32 v32, 3, v32                                  // 000000004604: 26404083
	v_and_b32_e32 v33, 1, v32                                  // 000000004608: 26424081
	v_mul_i32_i24_e32 v33, 4, v33                              // 00000000460C: 0C424284
	v_add_u32_e32 v20, v33, v20                                // 000000004610: 68282921
	v_and_b32_e32 v33, 2, v32                                  // 000000004614: 26424082
	v_lshrrev_b32_e32 v33, 1, v33                              // 000000004618: 20424281
	v_add_u32_e32 v20, v33, v20                                // 00000000461C: 68282921
	v_and_b32_e32 v32, 31, v0                                  // 000000004620: 2640009F
	v_lshrrev_b32_e32 v32, 2, v32                              // 000000004624: 20404082
	v_and_b32_e32 v34, 1, v32                                  // 000000004628: 26444081
	v_mul_i32_i24_e32 v33, 16, v34                             // 00000000462C: 0C424490
	v_add_u32_e32 v20, v33, v20                                // 000000004630: 68282921
	v_and_b32_e32 v33, 2, v32                                  // 000000004634: 26424082
	v_add_u32_e32 v20, v33, v20                                // 000000004638: 68282921
	v_lshrrev_b32_e32 v33, 2, v32                              // 00000000463C: 20424082
	v_xor_b32_e32 v33, v34, v33                                // 000000004640: 2A424322
	v_mul_i32_i24_e32 v33, 8, v33                              // 000000004644: 0C424288
	v_add_u32_e32 v20, v33, v20                                // 000000004648: 68282921
	s_and_b32 s60, 1, s47                                      // 00000000464C: 863C2F81
	s_mul_i32 s60, s60, 64                                     // 000000004650: 923CC03C
	s_lshr_b32 s61, s47, 1                                     // 000000004654: 8F3D812F
	s_mul_i32 s61, s61, 0x120                                  // 000000004658: 923DFF3D 00000120
	s_add_u32 s60, s60, s61                                    // 000000004660: 803C3D3C
	v_add_u32_e32 v20, s60, v20                                // 000000004664: 6828283C
	v_lshlrev_b32_e32 v20, 2, v20                              // 000000004668: 24282882
	buffer_load_dword v180, v1, s[12:15], 0 idxen              // 00000000466C: E0502000 8003B401
	buffer_load_dword v181, v2, s[12:15], 0 idxen              // 000000004674: E0502000 8003B502
	s_mul_i32 s60, 16, s7                                      // 00000000467C: 923C0790
	s_cmp_lt_i32 0, s72                                        // 000000004680: BF044880
	s_cselect_b32 s60, s60, 0                                  // 000000004684: 853C803C
	s_add_u32 s12, s60, s12                                    // 000000004688: 800C0C3C
	s_addc_u32 s13, 0, s13                                     // 00000000468C: 820D0D80
	buffer_load_dword v182, v1, s[12:15], 0 idxen              // 000000004690: E0502000 8003B601
	buffer_load_dword v183, v2, s[12:15], 0 idxen              // 000000004698: E0502000 8003B702
	s_mul_i32 s60, 16, s7                                      // 0000000046A0: 923C0790
	s_cmp_lt_i32 0, s72                                        // 0000000046A4: BF044880
	s_cselect_b32 s60, s60, 0                                  // 0000000046A8: 853C803C
	s_add_u32 s12, s60, s12                                    // 0000000046AC: 800C0C3C
	s_addc_u32 s13, 0, s13                                     // 0000000046B0: 820D0D80
	buffer_load_dword v184, v1, s[12:15], 0 idxen              // 0000000046B4: E0502000 8003B801
	buffer_load_dword v185, v2, s[12:15], 0 idxen              // 0000000046BC: E0502000 8003B902
	s_mul_i32 s60, 16, s7                                      // 0000000046C4: 923C0790
	s_cmp_lt_i32 0, s72                                        // 0000000046C8: BF044880
	s_cselect_b32 s60, s60, 0                                  // 0000000046CC: 853C803C
	s_add_u32 s12, s60, s12                                    // 0000000046D0: 800C0C3C
	s_addc_u32 s13, 0, s13                                     // 0000000046D4: 820D0D80
	buffer_load_dword v186, v1, s[12:15], 0 idxen              // 0000000046D8: E0502000 8003BA01
	buffer_load_dword v187, v2, s[12:15], 0 idxen              // 0000000046E0: E0502000 8003BB02
	s_mul_i32 s60, 16, s7                                      // 0000000046E8: 923C0790
	s_cmp_lt_i32 1, s72                                        // 0000000046EC: BF044881
	s_cselect_b32 s60, s60, 0                                  // 0000000046F0: 853C803C
	s_add_u32 s12, s60, s12                                    // 0000000046F4: 800C0C3C
	s_addc_u32 s13, 0, s13                                     // 0000000046F8: 820D0D80
	buffer_load_dword v188, v1, s[12:15], 0 idxen              // 0000000046FC: E0502000 8003BC01
	buffer_load_dword v189, v2, s[12:15], 0 idxen              // 000000004704: E0502000 8003BD02
	s_mul_i32 s60, 16, s7                                      // 00000000470C: 923C0790
	s_cmp_lt_i32 1, s72                                        // 000000004710: BF044881
	s_cselect_b32 s60, s60, 0                                  // 000000004714: 853C803C
	s_add_u32 s12, s60, s12                                    // 000000004718: 800C0C3C
	s_addc_u32 s13, 0, s13                                     // 00000000471C: 820D0D80
	buffer_load_dword v190, v1, s[12:15], 0 idxen              // 000000004720: E0502000 8003BE01
	buffer_load_dword v191, v2, s[12:15], 0 idxen              // 000000004728: E0502000 8003BF02
	s_mul_i32 s60, 16, s7                                      // 000000004730: 923C0790
	s_cmp_lt_i32 1, s72                                        // 000000004734: BF044881
	s_cselect_b32 s60, s60, 0                                  // 000000004738: 853C803C
	s_add_u32 s12, s60, s12                                    // 00000000473C: 800C0C3C
	s_addc_u32 s13, 0, s13                                     // 000000004740: 820D0D80
	buffer_load_dword v192, v1, s[12:15], 0 idxen              // 000000004744: E0502000 8003C001
	buffer_load_dword v193, v2, s[12:15], 0 idxen              // 00000000474C: E0502000 8003C102
	s_mul_i32 s60, 16, s7                                      // 000000004754: 923C0790
	s_cmp_lt_i32 1, s72                                        // 000000004758: BF044881
	s_cselect_b32 s60, s60, 0                                  // 00000000475C: 853C803C
	s_add_u32 s12, s60, s12                                    // 000000004760: 800C0C3C
	s_addc_u32 s13, 0, s13                                     // 000000004764: 820D0D80
	buffer_load_dword v194, v1, s[12:15], 0 idxen              // 000000004768: E0502000 8003C201
	buffer_load_dword v195, v2, s[12:15], 0 idxen              // 000000004770: E0502000 8003C302
	s_mul_i32 s60, 16, s7                                      // 000000004778: 923C0790
	s_cmp_lt_i32 2, s72                                        // 00000000477C: BF044882
	s_cselect_b32 s60, s60, 0                                  // 000000004780: 853C803C
	s_add_u32 s12, s60, s12                                    // 000000004784: 800C0C3C
	s_addc_u32 s13, 0, s13                                     // 000000004788: 820D0D80
	buffer_load_dword v196, v1, s[12:15], 0 idxen              // 00000000478C: E0502000 8003C401
	buffer_load_dword v197, v2, s[12:15], 0 idxen              // 000000004794: E0502000 8003C502
	s_mul_i32 s60, 16, s7                                      // 00000000479C: 923C0790
	s_cmp_lt_i32 2, s72                                        // 0000000047A0: BF044882
	s_cselect_b32 s60, s60, 0                                  // 0000000047A4: 853C803C
	s_add_u32 s12, s60, s12                                    // 0000000047A8: 800C0C3C
	s_addc_u32 s13, 0, s13                                     // 0000000047AC: 820D0D80
	buffer_load_dword v198, v1, s[12:15], 0 idxen              // 0000000047B0: E0502000 8003C601
	buffer_load_dword v199, v2, s[12:15], 0 idxen              // 0000000047B8: E0502000 8003C702
	s_mul_i32 s60, 16, s7                                      // 0000000047C0: 923C0790
	s_cmp_lt_i32 2, s72                                        // 0000000047C4: BF044882
	s_cselect_b32 s60, s60, 0                                  // 0000000047C8: 853C803C
	s_add_u32 s12, s60, s12                                    // 0000000047CC: 800C0C3C
	s_addc_u32 s13, 0, s13                                     // 0000000047D0: 820D0D80
	buffer_load_dword v200, v1, s[12:15], 0 idxen              // 0000000047D4: E0502000 8003C801
	buffer_load_dword v201, v2, s[12:15], 0 idxen              // 0000000047DC: E0502000 8003C902
	s_mul_i32 s60, 16, s7                                      // 0000000047E4: 923C0790
	s_cmp_lt_i32 2, s72                                        // 0000000047E8: BF044882
	s_cselect_b32 s60, s60, 0                                  // 0000000047EC: 853C803C
	s_add_u32 s12, s60, s12                                    // 0000000047F0: 800C0C3C
	s_addc_u32 s13, 0, s13                                     // 0000000047F4: 820D0D80
	buffer_load_dword v202, v1, s[12:15], 0 idxen              // 0000000047F8: E0502000 8003CA01
	buffer_load_dword v203, v2, s[12:15], 0 idxen              // 000000004800: E0502000 8003CB02
	s_mul_i32 s60, 16, s7                                      // 000000004808: 923C0790
	s_cmp_lt_i32 3, s72                                        // 00000000480C: BF044883
	s_cselect_b32 s60, s60, 0                                  // 000000004810: 853C803C
	s_add_u32 s12, s60, s12                                    // 000000004814: 800C0C3C
	s_addc_u32 s13, 0, s13                                     // 000000004818: 820D0D80
	s_waitcnt vmcnt(16) lgkmcnt(0)                             // 00000000481C: BF8C4070
	s_barrier                                                  // 000000004820: BF8A0000
	s_cmp_lt_i32 0, s72                                        // 000000004824: BF044880
	s_cbranch_scc1 label_0293                                  // 000000004828: BF850008
	v_mov_b32_e32 v180, 0                                      // 00000000482C: 7F680280
	v_mov_b32_e32 v181, 0                                      // 000000004830: 7F6A0280
	v_mov_b32_e32 v182, 0                                      // 000000004834: 7F6C0280
	v_mov_b32_e32 v183, 0                                      // 000000004838: 7F6E0280
	v_mov_b32_e32 v184, 0                                      // 00000000483C: 7F700280
	v_mov_b32_e32 v185, 0                                      // 000000004840: 7F720280
	v_mov_b32_e32 v186, 0                                      // 000000004844: 7F740280
	v_mov_b32_e32 v187, 0                                      // 000000004848: 7F760280

000000000000484c <label_0293>:
	v_perm_b32 v204, v181, v180, s63                           // 00000000484C: D1ED00CC 00FF69B5
	v_perm_b32 v205, v181, v180, s64                           // 000000004854: D1ED00CD 010369B5
	v_perm_b32 v206, v183, v182, s63                           // 00000000485C: D1ED00CE 00FF6DB7
	v_perm_b32 v207, v183, v182, s64                           // 000000004864: D1ED00CF 01036DB7
	v_perm_b32 v208, v185, v184, s63                           // 00000000486C: D1ED00D0 00FF71B9
	v_perm_b32 v209, v185, v184, s64                           // 000000004874: D1ED00D1 010371B9
	v_perm_b32 v210, v187, v186, s63                           // 00000000487C: D1ED00D2 00FF75BB
	v_perm_b32 v211, v187, v186, s64                           // 000000004884: D1ED00D3 010375BB
	ds_write_b32 v15, v204 offset:8704                         // 00000000488C: D81A2200 0000CC0F
	ds_write_b32 v15, v205 offset:9760                         // 000000004894: D81A2620 0000CD0F
	ds_write_b32 v15, v206 offset:10880                        // 00000000489C: D81A2A80 0000CE0F
	ds_write_b32 v15, v207 offset:11936                        // 0000000048A4: D81A2EA0 0000CF0F
	ds_write_b32 v15, v208 offset:13056                        // 0000000048AC: D81A3300 0000D00F
	ds_write_b32 v15, v209 offset:14112                        // 0000000048B4: D81A3720 0000D10F
	ds_write_b32 v15, v210 offset:15232                        // 0000000048BC: D81A3B80 0000D20F
	ds_write_b32 v15, v211 offset:16288                        // 0000000048C4: D81A3FA0 0000D30F
	ds_write_b32 v13, v180                                     // 0000000048CC: D81A0000 0000B40D
	ds_write_b32 v13, v181 offset:1056                         // 0000000048D4: D81A0420 0000B50D
	ds_write_b32 v13, v182 offset:2176                         // 0000000048DC: D81A0880 0000B60D
	ds_write_b32 v13, v183 offset:3232                         // 0000000048E4: D81A0CA0 0000B70D
	ds_write_b32 v13, v184 offset:4352                         // 0000000048EC: D81A1100 0000B80D
	ds_write_b32 v13, v185 offset:5408                         // 0000000048F4: D81A1520 0000B90D
	ds_write_b32 v13, v186 offset:6528                         // 0000000048FC: D81A1980 0000BA0D
	ds_write_b32 v13, v187 offset:7584                         // 000000004904: D81A1DA0 0000BB0D
	buffer_load_dword v180, v1, s[16:19], 0 idxen              // 00000000490C: E0502000 8004B401
	buffer_load_dword v181, v2, s[16:19], 0 idxen              // 000000004914: E0502000 8004B502
	s_mul_i32 s60, 16, s7                                      // 00000000491C: 923C0790
	s_cmp_lt_i32 0, s72                                        // 000000004920: BF044880
	s_cselect_b32 s60, s60, 0                                  // 000000004924: 853C803C
	s_add_u32 s16, s60, s16                                    // 000000004928: 8010103C
	s_addc_u32 s17, 0, s17                                     // 00000000492C: 82111180
	buffer_load_dword v182, v1, s[16:19], 0 idxen              // 000000004930: E0502000 8004B601
	buffer_load_dword v183, v2, s[16:19], 0 idxen              // 000000004938: E0502000 8004B702
	s_mul_i32 s60, 16, s7                                      // 000000004940: 923C0790
	s_cmp_lt_i32 0, s72                                        // 000000004944: BF044880
	s_cselect_b32 s60, s60, 0                                  // 000000004948: 853C803C
	s_add_u32 s16, s60, s16                                    // 00000000494C: 8010103C
	s_addc_u32 s17, 0, s17                                     // 000000004950: 82111180
	buffer_load_dword v184, v1, s[16:19], 0 idxen              // 000000004954: E0502000 8004B801
	buffer_load_dword v185, v2, s[16:19], 0 idxen              // 00000000495C: E0502000 8004B902
	s_mul_i32 s60, 16, s7                                      // 000000004964: 923C0790
	s_cmp_lt_i32 0, s72                                        // 000000004968: BF044880
	s_cselect_b32 s60, s60, 0                                  // 00000000496C: 853C803C
	s_add_u32 s16, s60, s16                                    // 000000004970: 8010103C
	s_addc_u32 s17, 0, s17                                     // 000000004974: 82111180
	buffer_load_dword v186, v1, s[16:19], 0 idxen              // 000000004978: E0502000 8004BA01
	buffer_load_dword v187, v2, s[16:19], 0 idxen              // 000000004980: E0502000 8004BB02
	s_mul_i32 s60, 16, s7                                      // 000000004988: 923C0790
	s_cmp_lt_i32 1, s72                                        // 00000000498C: BF044881
	s_cselect_b32 s60, s60, 0                                  // 000000004990: 853C803C
	s_add_u32 s16, s60, s16                                    // 000000004994: 8010103C
	s_addc_u32 s17, 0, s17                                     // 000000004998: 82111180
	s_waitcnt lgkmcnt(0)                                       // 00000000499C: BF8CC07F
	s_barrier                                                  // 0000000049A0: BF8A0000
	ds_read_b128 a[24:27], v25 offset:8704                     // 0000000049A4: DBFE2200 18000019
	ds_read_b128 a[28:31], v25 offset:8960                     // 0000000049AC: DBFE2300 1C000019
	ds_read_b128 a[32:35], v25 offset:13056                    // 0000000049B4: DBFE3300 20000019
	ds_read_b128 a[36:39], v25 offset:13312                    // 0000000049BC: DBFE3400 24000019
	ds_read_b128 a[0:3], v24                                   // 0000000049C4: DBFE0000 00000018
	ds_read_b128 a[4:7], v24 offset:512                        // 0000000049CC: DBFE0200 04000018
	s_waitcnt vmcnt(16) lgkmcnt(0)                             // 0000000049D4: BF8C4070
	s_barrier                                                  // 0000000049D8: BF8A0000
	s_cmp_lt_i32 1, s72                                        // 0000000049DC: BF044881
	s_cbranch_scc1 label_0301                                  // 0000000049E0: BF850008
	v_mov_b32_e32 v188, 0                                      // 0000000049E4: 7F780280
	v_mov_b32_e32 v189, 0                                      // 0000000049E8: 7F7A0280
	v_mov_b32_e32 v190, 0                                      // 0000000049EC: 7F7C0280
	v_mov_b32_e32 v191, 0                                      // 0000000049F0: 7F7E0280
	v_mov_b32_e32 v192, 0                                      // 0000000049F4: 7F800280
	v_mov_b32_e32 v193, 0                                      // 0000000049F8: 7F820280
	v_mov_b32_e32 v194, 0                                      // 0000000049FC: 7F840280
	v_mov_b32_e32 v195, 0                                      // 000000004A00: 7F860280

0000000000004a04 <label_0301>:
	v_perm_b32 v204, v189, v188, s63                           // 000000004A04: D1ED00CC 00FF79BD
	v_perm_b32 v205, v189, v188, s64                           // 000000004A0C: D1ED00CD 010379BD
	v_perm_b32 v206, v191, v190, s63                           // 000000004A14: D1ED00CE 00FF7DBF
	v_perm_b32 v207, v191, v190, s64                           // 000000004A1C: D1ED00CF 01037DBF
	v_perm_b32 v208, v193, v192, s63                           // 000000004A24: D1ED00D0 00FF81C1
	v_perm_b32 v209, v193, v192, s64                           // 000000004A2C: D1ED00D1 010381C1
	v_perm_b32 v210, v195, v194, s63                           // 000000004A34: D1ED00D2 00FF85C3
	v_perm_b32 v211, v195, v194, s64                           // 000000004A3C: D1ED00D3 010385C3
	ds_write_b32 v15, v204 offset:8704                         // 000000004A44: D81A2200 0000CC0F
	ds_write_b32 v15, v205 offset:9760                         // 000000004A4C: D81A2620 0000CD0F
	ds_write_b32 v15, v206 offset:10880                        // 000000004A54: D81A2A80 0000CE0F
	ds_write_b32 v15, v207 offset:11936                        // 000000004A5C: D81A2EA0 0000CF0F
	ds_write_b32 v15, v208 offset:13056                        // 000000004A64: D81A3300 0000D00F
	ds_write_b32 v15, v209 offset:14112                        // 000000004A6C: D81A3720 0000D10F
	ds_write_b32 v15, v210 offset:15232                        // 000000004A74: D81A3B80 0000D20F
	ds_write_b32 v15, v211 offset:16288                        // 000000004A7C: D81A3FA0 0000D30F
	ds_write_b32 v13, v188                                     // 000000004A84: D81A0000 0000BC0D
	ds_write_b32 v13, v189 offset:1056                         // 000000004A8C: D81A0420 0000BD0D
	ds_write_b32 v13, v190 offset:2176                         // 000000004A94: D81A0880 0000BE0D
	ds_write_b32 v13, v191 offset:3232                         // 000000004A9C: D81A0CA0 0000BF0D
	ds_write_b32 v13, v192 offset:4352                         // 000000004AA4: D81A1100 0000C00D
	ds_write_b32 v13, v193 offset:5408                         // 000000004AAC: D81A1520 0000C10D
	ds_write_b32 v13, v194 offset:6528                         // 000000004AB4: D81A1980 0000C20D
	ds_write_b32 v13, v195 offset:7584                         // 000000004ABC: D81A1DA0 0000C30D
	buffer_load_dword v188, v1, s[16:19], 0 idxen              // 000000004AC4: E0502000 8004BC01
	buffer_load_dword v189, v2, s[16:19], 0 idxen              // 000000004ACC: E0502000 8004BD02
	s_mul_i32 s60, 16, s7                                      // 000000004AD4: 923C0790
	s_cmp_lt_i32 1, s72                                        // 000000004AD8: BF044881
	s_cselect_b32 s60, s60, 0                                  // 000000004ADC: 853C803C
	s_add_u32 s16, s60, s16                                    // 000000004AE0: 8010103C
	s_addc_u32 s17, 0, s17                                     // 000000004AE4: 82111180
	buffer_load_dword v190, v1, s[16:19], 0 idxen              // 000000004AE8: E0502000 8004BE01
	buffer_load_dword v191, v2, s[16:19], 0 idxen              // 000000004AF0: E0502000 8004BF02
	s_mul_i32 s60, 16, s7                                      // 000000004AF8: 923C0790
	s_cmp_lt_i32 1, s72                                        // 000000004AFC: BF044881
	s_cselect_b32 s60, s60, 0                                  // 000000004B00: 853C803C
	s_add_u32 s16, s60, s16                                    // 000000004B04: 8010103C
	s_addc_u32 s17, 0, s17                                     // 000000004B08: 82111180
	buffer_load_dword v192, v1, s[16:19], 0 idxen              // 000000004B0C: E0502000 8004C001
	buffer_load_dword v193, v2, s[16:19], 0 idxen              // 000000004B14: E0502000 8004C102
	s_mul_i32 s60, 16, s7                                      // 000000004B1C: 923C0790
	s_cmp_lt_i32 1, s72                                        // 000000004B20: BF044881
	s_cselect_b32 s60, s60, 0                                  // 000000004B24: 853C803C
	s_add_u32 s16, s60, s16                                    // 000000004B28: 8010103C
	s_addc_u32 s17, 0, s17                                     // 000000004B2C: 82111180
	buffer_load_dword v194, v1, s[16:19], 0 idxen              // 000000004B30: E0502000 8004C201
	buffer_load_dword v195, v2, s[16:19], 0 idxen              // 000000004B38: E0502000 8004C302
	s_mul_i32 s60, 16, s7                                      // 000000004B40: 923C0790
	s_cmp_lt_i32 2, s72                                        // 000000004B44: BF044882
	s_cselect_b32 s60, s60, 0                                  // 000000004B48: 853C803C
	s_add_u32 s16, s60, s16                                    // 000000004B4C: 8010103C
	s_addc_u32 s17, 0, s17                                     // 000000004B50: 82111180
	s_waitcnt lgkmcnt(0)                                       // 000000004B54: BF8CC07F
	s_barrier                                                  // 000000004B58: BF8A0000
	ds_read_b128 a[40:43], v25 offset:8704                     // 000000004B5C: DBFE2200 28000019
	ds_read_b128 a[44:47], v25 offset:8960                     // 000000004B64: DBFE2300 2C000019
	ds_read_b128 a[48:51], v25 offset:13056                    // 000000004B6C: DBFE3300 30000019
	ds_read_b128 a[52:55], v25 offset:13312                    // 000000004B74: DBFE3400 34000019
	ds_read_b128 a[8:11], v24                                  // 000000004B7C: DBFE0000 08000018
	ds_read_b128 a[12:15], v24 offset:512                      // 000000004B84: DBFE0200 0C000018
	s_waitcnt vmcnt(16) lgkmcnt(0)                             // 000000004B8C: BF8C4070
	s_barrier                                                  // 000000004B90: BF8A0000
	s_cmp_lt_i32 2, s72                                        // 000000004B94: BF044882
	s_cbranch_scc1 label_036F                                  // 000000004B98: BF850008
	v_mov_b32_e32 v196, 0                                      // 000000004B9C: 7F880280
	v_mov_b32_e32 v197, 0                                      // 000000004BA0: 7F8A0280
	v_mov_b32_e32 v198, 0                                      // 000000004BA4: 7F8C0280
	v_mov_b32_e32 v199, 0                                      // 000000004BA8: 7F8E0280
	v_mov_b32_e32 v200, 0                                      // 000000004BAC: 7F900280
	v_mov_b32_e32 v201, 0                                      // 000000004BB0: 7F920280
	v_mov_b32_e32 v202, 0                                      // 000000004BB4: 7F940280
	v_mov_b32_e32 v203, 0                                      // 000000004BB8: 7F960280

0000000000004bbc <label_036F>:
	v_perm_b32 v204, v197, v196, s63                           // 000000004BBC: D1ED00CC 00FF89C5
	v_perm_b32 v205, v197, v196, s64                           // 000000004BC4: D1ED00CD 010389C5
	v_perm_b32 v206, v199, v198, s63                           // 000000004BCC: D1ED00CE 00FF8DC7
	v_perm_b32 v207, v199, v198, s64                           // 000000004BD4: D1ED00CF 01038DC7
	v_perm_b32 v208, v201, v200, s63                           // 000000004BDC: D1ED00D0 00FF91C9
	v_perm_b32 v209, v201, v200, s64                           // 000000004BE4: D1ED00D1 010391C9
	v_perm_b32 v210, v203, v202, s63                           // 000000004BEC: D1ED00D2 00FF95CB
	v_perm_b32 v211, v203, v202, s64                           // 000000004BF4: D1ED00D3 010395CB
	ds_write_b32 v15, v204 offset:8704                         // 000000004BFC: D81A2200 0000CC0F
	ds_write_b32 v15, v205 offset:9760                         // 000000004C04: D81A2620 0000CD0F
	ds_write_b32 v15, v206 offset:10880                        // 000000004C0C: D81A2A80 0000CE0F
	ds_write_b32 v15, v207 offset:11936                        // 000000004C14: D81A2EA0 0000CF0F
	ds_write_b32 v15, v208 offset:13056                        // 000000004C1C: D81A3300 0000D00F
	ds_write_b32 v15, v209 offset:14112                        // 000000004C24: D81A3720 0000D10F
	ds_write_b32 v15, v210 offset:15232                        // 000000004C2C: D81A3B80 0000D20F
	ds_write_b32 v15, v211 offset:16288                        // 000000004C34: D81A3FA0 0000D30F
	ds_write_b32 v13, v196                                     // 000000004C3C: D81A0000 0000C40D
	ds_write_b32 v13, v197 offset:1056                         // 000000004C44: D81A0420 0000C50D
	ds_write_b32 v13, v198 offset:2176                         // 000000004C4C: D81A0880 0000C60D
	ds_write_b32 v13, v199 offset:3232                         // 000000004C54: D81A0CA0 0000C70D
	ds_write_b32 v13, v200 offset:4352                         // 000000004C5C: D81A1100 0000C80D
	ds_write_b32 v13, v201 offset:5408                         // 000000004C64: D81A1520 0000C90D
	ds_write_b32 v13, v202 offset:6528                         // 000000004C6C: D81A1980 0000CA0D
	ds_write_b32 v13, v203 offset:7584                         // 000000004C74: D81A1DA0 0000CB0D
	buffer_load_dword v196, v1, s[16:19], 0 idxen              // 000000004C7C: E0502000 8004C401
	buffer_load_dword v197, v2, s[16:19], 0 idxen              // 000000004C84: E0502000 8004C502
	s_mul_i32 s60, 16, s7                                      // 000000004C8C: 923C0790
	s_cmp_lt_i32 2, s72                                        // 000000004C90: BF044882
	s_cselect_b32 s60, s60, 0                                  // 000000004C94: 853C803C
	s_add_u32 s16, s60, s16                                    // 000000004C98: 8010103C
	s_addc_u32 s17, 0, s17                                     // 000000004C9C: 82111180
	buffer_load_dword v198, v1, s[16:19], 0 idxen              // 000000004CA0: E0502000 8004C601
	buffer_load_dword v199, v2, s[16:19], 0 idxen              // 000000004CA8: E0502000 8004C702
	s_mul_i32 s60, 16, s7                                      // 000000004CB0: 923C0790
	s_cmp_lt_i32 2, s72                                        // 000000004CB4: BF044882
	s_cselect_b32 s60, s60, 0                                  // 000000004CB8: 853C803C
	s_add_u32 s16, s60, s16                                    // 000000004CBC: 8010103C
	s_addc_u32 s17, 0, s17                                     // 000000004CC0: 82111180
	buffer_load_dword v200, v1, s[16:19], 0 idxen              // 000000004CC4: E0502000 8004C801
	buffer_load_dword v201, v2, s[16:19], 0 idxen              // 000000004CCC: E0502000 8004C902
	s_mul_i32 s60, 16, s7                                      // 000000004CD4: 923C0790
	s_cmp_lt_i32 2, s72                                        // 000000004CD8: BF044882
	s_cselect_b32 s60, s60, 0                                  // 000000004CDC: 853C803C
	s_add_u32 s16, s60, s16                                    // 000000004CE0: 8010103C
	s_addc_u32 s17, 0, s17                                     // 000000004CE4: 82111180
	buffer_load_dword v202, v1, s[16:19], 0 idxen              // 000000004CE8: E0502000 8004CA01
	buffer_load_dword v203, v2, s[16:19], 0 idxen              // 000000004CF0: E0502000 8004CB02
	s_mul_i32 s60, 16, s7                                      // 000000004CF8: 923C0790
	s_cmp_lt_i32 3, s72                                        // 000000004CFC: BF044883
	s_cselect_b32 s60, s60, 0                                  // 000000004D00: 853C803C
	s_add_u32 s16, s60, s16                                    // 000000004D04: 8010103C
	s_addc_u32 s17, 0, s17                                     // 000000004D08: 82111180
	s_waitcnt lgkmcnt(0)                                       // 000000004D0C: BF8CC07F
	s_barrier                                                  // 000000004D10: BF8A0000
	ds_read_b128 a[56:59], v25 offset:8704                     // 000000004D14: DBFE2200 38000019
	ds_read_b128 a[60:63], v25 offset:8960                     // 000000004D1C: DBFE2300 3C000019
	ds_read_b128 a[64:67], v25 offset:13056                    // 000000004D24: DBFE3300 40000019
	ds_read_b128 a[68:71], v25 offset:13312                    // 000000004D2C: DBFE3400 44000019
	ds_read_b128 a[16:19], v24                                 // 000000004D34: DBFE0000 10000018
	ds_read_b128 a[20:23], v24 offset:512                      // 000000004D3C: DBFE0200 14000018
	s_waitcnt vmcnt(16) lgkmcnt(0)                             // 000000004D44: BF8C4070
	s_barrier                                                  // 000000004D48: BF8A0000
	s_cmp_lt_i32 0, s72                                        // 000000004D4C: BF044880
	s_cbranch_scc1 label_03DD                                  // 000000004D50: BF850008
	v_mov_b32_e32 v180, 0                                      // 000000004D54: 7F680280
	v_mov_b32_e32 v181, 0                                      // 000000004D58: 7F6A0280
	v_mov_b32_e32 v182, 0                                      // 000000004D5C: 7F6C0280
	v_mov_b32_e32 v183, 0                                      // 000000004D60: 7F6E0280
	v_mov_b32_e32 v184, 0                                      // 000000004D64: 7F700280
	v_mov_b32_e32 v185, 0                                      // 000000004D68: 7F720280
	v_mov_b32_e32 v186, 0                                      // 000000004D6C: 7F740280
	v_mov_b32_e32 v187, 0                                      // 000000004D70: 7F760280

0000000000004d74 <label_03DD>:
	ds_write_b32 v13, v180                                     // 000000004D74: D81A0000 0000B40D
	ds_write_b32 v13, v181 offset:1056                         // 000000004D7C: D81A0420 0000B50D
	ds_write_b32 v13, v182 offset:2176                         // 000000004D84: D81A0880 0000B60D
	ds_write_b32 v13, v183 offset:3232                         // 000000004D8C: D81A0CA0 0000B70D
	ds_write_b32 v13, v184 offset:4352                         // 000000004D94: D81A1100 0000B80D
	ds_write_b32 v13, v185 offset:5408                         // 000000004D9C: D81A1520 0000B90D
	ds_write_b32 v13, v186 offset:6528                         // 000000004DA4: D81A1980 0000BA0D
	ds_write_b32 v13, v187 offset:7584                         // 000000004DAC: D81A1DA0 0000BB0D
	s_mov_b32 s71, s70                                         // 000000004DB4: BEC70046
	v_lshrrev_b32_e32 v32, 4, v0                               // 000000004DB8: 20400084
	v_and_b32_e32 v33, 1, v32                                  // 000000004DBC: 26424081
	v_lshlrev_b32_e32 v33, 1, v33                              // 000000004DC0: 24424281
	v_mul_i32_i24_e32 v33, s71, v33                            // 000000004DC4: 0C424247
	v_and_b32_e32 v34, 2, v32                                  // 000000004DC8: 26444082
	v_lshlrev_b32_e32 v34, 5, v34                              // 000000004DCC: 24444485
	v_add_u32_e32 v33, v34, v33                                // 000000004DD0: 68424322
	v_and_b32_e32 v32, 15, v0                                  // 000000004DD4: 2640008F
	v_lshlrev_b32_e32 v32, 2, v32                              // 000000004DD8: 24404082
	v_add_u32_e32 v1, v32, v33                                 // 000000004DDC: 68024320
	s_mul_i32 s60, s47, s71                                    // 000000004DE0: 923C472F
	s_mul_i32 s60, s60, 4                                      // 000000004DE4: 923C843C
	v_add_u32_e32 v1, s60, v1                                  // 000000004DE8: 6802023C
	v_add_u32_e32 v2, s71, v1                                  // 000000004DEC: 68040247
	s_mul_i32 s60, 16, s71                                     // 000000004DF0: 923C4790
	v_add_u32_e32 v3, s60, v1                                  // 000000004DF4: 6806023C
	v_add_u32_e32 v4, s60, v2                                  // 000000004DF8: 6808043C
	v_lshrrev_b32_e32 v1, 2, v1                                // 000000004DFC: 20020282
	v_lshrrev_b32_e32 v2, 2, v2                                // 000000004E00: 20040482
	v_lshrrev_b32_e32 v3, 2, v3                                // 000000004E04: 20060682
	v_lshrrev_b32_e32 v4, 2, v4                                // 000000004E08: 20080882
	buffer_load_dword v36, v1, s[8:11], 0 idxen                // 000000004E0C: E0502000 80022401
	buffer_load_dword v37, v2, s[8:11], 0 idxen                // 000000004E14: E0502000 80022502
	buffer_load_dword v38, v3, s[8:11], 0 idxen                // 000000004E1C: E0502000 80022603
	buffer_load_dword v39, v4, s[8:11], 0 idxen                // 000000004E24: E0502000 80022704
	buffer_load_dword v44, v1, s[20:23], 0 idxen               // 000000004E2C: E0502000 80052C01
	buffer_load_dword v45, v2, s[20:23], 0 idxen               // 000000004E34: E0502000 80052D02
	buffer_load_dword v46, v3, s[20:23], 0 idxen               // 000000004E3C: E0502000 80052E03
	buffer_load_dword v47, v4, s[20:23], 0 idxen               // 000000004E44: E0502000 80052F04
	s_waitcnt lgkmcnt(0)                                       // 000000004E4C: BF8CC07F
	s_barrier                                                  // 000000004E50: BF8A0000
	ds_read_b128 a[72:75], v24                                 // 000000004E54: DBFE0000 48000018
	ds_read_b128 a[76:79], v24 offset:512                      // 000000004E5C: DBFE0200 4C000018
	s_add_u32 s8, s68, s8                                      // 000000004E64: 80080844
	s_addc_u32 s9, 0, s9                                       // 000000004E68: 82090980
	s_add_u32 s20, s68, s20                                    // 000000004E6C: 80141444
	s_addc_u32 s21, 0, s21                                     // 000000004E70: 82151580
	s_waitcnt vmcnt(16) lgkmcnt(0)                             // 000000004E74: BF8C4070
	s_barrier                                                  // 000000004E78: BF8A0000
	s_cmp_lt_i32 1, s72                                        // 000000004E7C: BF044881
	s_cbranch_scc1 label_0429                                  // 000000004E80: BF850008
	v_mov_b32_e32 v188, 0                                      // 000000004E84: 7F780280
	v_mov_b32_e32 v189, 0                                      // 000000004E88: 7F7A0280
	v_mov_b32_e32 v190, 0                                      // 000000004E8C: 7F7C0280
	v_mov_b32_e32 v191, 0                                      // 000000004E90: 7F7E0280
	v_mov_b32_e32 v192, 0                                      // 000000004E94: 7F800280
	v_mov_b32_e32 v193, 0                                      // 000000004E98: 7F820280
	v_mov_b32_e32 v194, 0                                      // 000000004E9C: 7F840280
	v_mov_b32_e32 v195, 0                                      // 000000004EA0: 7F860280

0000000000004ea4 <label_0429>:
	ds_write_b32 v13, v188                                     // 000000004EA4: D81A0000 0000BC0D
	ds_write_b32 v13, v189 offset:1056                         // 000000004EAC: D81A0420 0000BD0D
	ds_write_b32 v13, v190 offset:2176                         // 000000004EB4: D81A0880 0000BE0D
	ds_write_b32 v13, v191 offset:3232                         // 000000004EBC: D81A0CA0 0000BF0D
	ds_write_b32 v13, v192 offset:4352                         // 000000004EC4: D81A1100 0000C00D
	ds_write_b32 v13, v193 offset:5408                         // 000000004ECC: D81A1520 0000C10D
	ds_write_b32 v13, v194 offset:6528                         // 000000004ED4: D81A1980 0000C20D
	ds_write_b32 v13, v195 offset:7584                         // 000000004EDC: D81A1DA0 0000C30D
	buffer_load_dword v40, v1, s[8:11], 0 idxen                // 000000004EE4: E0502000 80022801
	buffer_load_dword v41, v2, s[8:11], 0 idxen                // 000000004EEC: E0502000 80022902
	buffer_load_dword v42, v3, s[8:11], 0 idxen                // 000000004EF4: E0502000 80022A03
	buffer_load_dword v43, v4, s[8:11], 0 idxen                // 000000004EFC: E0502000 80022B04
	buffer_load_dword v48, v1, s[20:23], 0 idxen               // 000000004F04: E0502000 80053001
	buffer_load_dword v49, v2, s[20:23], 0 idxen               // 000000004F0C: E0502000 80053102
	buffer_load_dword v50, v3, s[20:23], 0 idxen               // 000000004F14: E0502000 80053203
	buffer_load_dword v51, v4, s[20:23], 0 idxen               // 000000004F1C: E0502000 80053304
	s_waitcnt lgkmcnt(0)                                       // 000000004F24: BF8CC07F
	s_barrier                                                  // 000000004F28: BF8A0000
	ds_read_b128 a[80:83], v24                                 // 000000004F2C: DBFE0000 50000018
	ds_read_b128 a[84:87], v24 offset:512                      // 000000004F34: DBFE0200 54000018
	s_add_u32 s60, 64, s59                                     // 000000004F3C: 803C3BC0
	s_cmp_lt_u32 s60, s58                                      // 000000004F40: BF0A3A3C
	s_cselect_b32 s68, s68, 0                                  // 000000004F44: 85448044
	s_add_u32 s8, s68, s8                                      // 000000004F48: 80080844
	s_addc_u32 s9, 0, s9                                       // 000000004F4C: 82090980
	s_add_u32 s20, s68, s20                                    // 000000004F50: 80141444
	s_addc_u32 s21, 0, s21                                     // 000000004F54: 82151580
	s_waitcnt vmcnt(16) lgkmcnt(0)                             // 000000004F58: BF8C4070
	s_barrier                                                  // 000000004F5C: BF8A0000
	s_cmp_lt_i32 2, s72                                        // 000000004F60: BF044882
	s_cbranch_scc1 label_0462                                  // 000000004F64: BF850008
	v_mov_b32_e32 v196, 0                                      // 000000004F68: 7F880280
	v_mov_b32_e32 v197, 0                                      // 000000004F6C: 7F8A0280
	v_mov_b32_e32 v198, 0                                      // 000000004F70: 7F8C0280
	v_mov_b32_e32 v199, 0                                      // 000000004F74: 7F8E0280
	v_mov_b32_e32 v200, 0                                      // 000000004F78: 7F900280
	v_mov_b32_e32 v201, 0                                      // 000000004F7C: 7F920280
	v_mov_b32_e32 v202, 0                                      // 000000004F80: 7F940280
	v_mov_b32_e32 v203, 0                                      // 000000004F84: 7F960280

0000000000004f88 <label_0462>:
	ds_write_b32 v13, v196                                     // 000000004F88: D81A0000 0000C40D
	ds_write_b32 v13, v197 offset:1056                         // 000000004F90: D81A0420 0000C50D
	ds_write_b32 v13, v198 offset:2176                         // 000000004F98: D81A0880 0000C60D
	ds_write_b32 v13, v199 offset:3232                         // 000000004FA0: D81A0CA0 0000C70D
	ds_write_b32 v13, v200 offset:4352                         // 000000004FA8: D81A1100 0000C80D
	ds_write_b32 v13, v201 offset:5408                         // 000000004FB0: D81A1520 0000C90D
	ds_write_b32 v13, v202 offset:6528                         // 000000004FB8: D81A1980 0000CA0D
	ds_write_b32 v13, v203 offset:7584                         // 000000004FC0: D81A1DA0 0000CB0D
	s_waitcnt lgkmcnt(0)                                       // 000000004FC8: BF8CC07F
	s_barrier                                                  // 000000004FCC: BF8A0000
	ds_read_b128 a[88:91], v24                                 // 000000004FD0: DBFE0000 58000018
	ds_read_b128 a[92:95], v24 offset:512                      // 000000004FD8: DBFE0200 5C000018
	s_waitcnt vmcnt(8) lgkmcnt(0)                              // 000000004FE0: BF8C0078
	s_barrier                                                  // 000000004FE4: BF8A0000
	buffer_load_dword v11, s[24:27], 0 idxen lds               // 000000004FE8: E0512000 8006000B
	s_mov_b32 m0, s79                                          // 000000004FF0: BEFC004F
	v_add_u32_e32 v11, s69, v11                                // 000000004FF4: 68161645
	v_perm_b32 v100, v37, v36, s63                             // 000000004FF8: D1ED0064 00FE4925
	v_perm_b32 v101, v37, v36, s64                             // 000000005000: D1ED0065 01024925
	v_perm_b32 v102, v39, v38, s63                             // 000000005008: D1ED0066 00FE4D27
	v_perm_b32 v103, v39, v38, s64                             // 000000005010: D1ED0067 01024D27
	ds_write_b32 v15, v100 offset:4352                         // 000000005018: D81A1100 0000640F
	ds_write_b32 v15, v101 offset:5408                         // 000000005020: D81A1520 0000650F
	ds_write_b32 v15, v102 offset:6528                         // 000000005028: D81A1980 0000660F
	ds_write_b32 v15, v103 offset:7584                         // 000000005030: D81A1DA0 0000670F
	ds_write_b32 v13, v36                                      // 000000005038: D81A0000 0000240D
	ds_write_b32 v13, v37 offset:1056                          // 000000005040: D81A0420 0000250D
	ds_write_b32 v13, v38 offset:2176                          // 000000005048: D81A0880 0000260D
	ds_write_b32 v13, v39 offset:3232                          // 000000005050: D81A0CA0 0000270D
	buffer_load_dword v11, s[24:27], 0 idxen lds               // 000000005058: E0512000 8006000B
	s_add_u32 s60, 64, s59                                     // 000000005060: 803C3BC0
	s_cmp_lt_u32 s60, s58                                      // 000000005064: BF0A3A3C
	s_cselect_b32 s69, s69, 0                                  // 000000005068: 85458045
	s_mov_b32 m0, s78                                          // 00000000506C: BEFC004E
	v_add_u32_e32 v11, s69, v11                                // 000000005070: 68161645
	v_perm_b32 v104, v45, v44, s63                             // 000000005074: D1ED0068 00FE592D
	v_perm_b32 v105, v45, v44, s64                             // 00000000507C: D1ED0069 0102592D
	v_perm_b32 v106, v47, v46, s63                             // 000000005084: D1ED006A 00FE5D2F
	v_perm_b32 v107, v47, v46, s64                             // 00000000508C: D1ED006B 01025D2F
	ds_write_b32 v15, v104 offset:13056                        // 000000005094: D81A3300 0000680F
	ds_write_b32 v15, v105 offset:14112                        // 00000000509C: D81A3720 0000690F
	ds_write_b32 v15, v106 offset:15232                        // 0000000050A4: D81A3B80 00006A0F
	ds_write_b32 v15, v107 offset:16288                        // 0000000050AC: D81A3FA0 00006B0F
	ds_write_b32 v13, v44 offset:8704                          // 0000000050B4: D81A2200 00002C0D
	ds_write_b32 v13, v45 offset:9760                          // 0000000050BC: D81A2620 00002D0D
	ds_write_b32 v13, v46 offset:10880                         // 0000000050C4: D81A2A80 00002E0D
	ds_write_b32 v13, v47 offset:11936                         // 0000000050CC: D81A2EA0 00002F0D
	s_waitcnt vmcnt(1) lgkmcnt(0)                              // 0000000050D4: BF8C0071
	s_barrier                                                  // 0000000050D8: BF8A0000
	ds_read_b128 a[96:99], v12                                 // 0000000050DC: DBFE0000 6000000C
	ds_read_b128 a[100:103], v12 offset:512                    // 0000000050E4: DBFE0200 6400000C
	ds_read_b128 a[104:107], v12 offset:2176                   // 0000000050EC: DBFE0880 6800000C
	ds_read_b128 a[108:111], v12 offset:2688                   // 0000000050F4: DBFE0A80 6C00000C
	ds_read_b128 v[108:111], v12 offset:8704                   // 0000000050FC: D9FE2200 6C00000C
	ds_read_b128 v[112:115], v12 offset:9216                   // 000000005104: D9FE2400 7000000C
	ds_read_b128 v[116:119], v12 offset:10880                  // 00000000510C: D9FE2A80 7400000C
	ds_read_b128 v[120:123], v12 offset:11392                  // 000000005114: D9FE2C80 7800000C
	ds_read_b32 v140, v23 offset:35584                         // 00000000511C: D86C8B00 8C000017
	ds_read_b32 v144, v23 offset:35648                         // 000000005124: D86C8B40 90000017
	ds_read_b32 v176, v23 offset:35840                         // 00000000512C: D86C8C00 B0000017
	ds_read_b32 v177, v23 offset:35904                         // 000000005134: D86C8C40 B1000017
	v_accvgpr_write_b32 a112, 0                                // 00000000513C: D3D94070 18000080
	v_mov_b32_e32 v180, 0                                      // 000000005144: 7F680280
	v_accvgpr_write_b32 a113, 0                                // 000000005148: D3D94071 18000080
	v_mov_b32_e32 v181, 0                                      // 000000005150: 7F6A0280
	v_accvgpr_write_b32 a114, 0                                // 000000005154: D3D94072 18000080
	v_mov_b32_e32 v182, 0                                      // 00000000515C: 7F6C0280
	v_accvgpr_write_b32 a115, 0                                // 000000005160: D3D94073 18000080
	v_mov_b32_e32 v183, 0                                      // 000000005168: 7F6E0280
	v_accvgpr_write_b32 a116, 0                                // 00000000516C: D3D94074 18000080
	v_mov_b32_e32 v184, 0                                      // 000000005174: 7F700280
	v_accvgpr_write_b32 a117, 0                                // 000000005178: D3D94075 18000080
	v_mov_b32_e32 v185, 0                                      // 000000005180: 7F720280
	v_accvgpr_write_b32 a118, 0                                // 000000005184: D3D94076 18000080
	v_mov_b32_e32 v186, 0                                      // 00000000518C: 7F740280
	v_accvgpr_write_b32 a119, 0                                // 000000005190: D3D94077 18000080
	v_mov_b32_e32 v187, 0                                      // 000000005198: 7F760280
	v_accvgpr_write_b32 a120, 0                                // 00000000519C: D3D94078 18000080
	v_mov_b32_e32 v188, 0                                      // 0000000051A4: 7F780280
	v_accvgpr_write_b32 a121, 0                                // 0000000051A8: D3D94079 18000080
	v_mov_b32_e32 v189, 0                                      // 0000000051B0: 7F7A0280
	v_accvgpr_write_b32 a122, 0                                // 0000000051B4: D3D9407A 18000080
	v_mov_b32_e32 v190, 0                                      // 0000000051BC: 7F7C0280
	v_accvgpr_write_b32 a123, 0                                // 0000000051C0: D3D9407B 18000080
	v_mov_b32_e32 v191, 0                                      // 0000000051C8: 7F7E0280
	v_accvgpr_write_b32 a124, 0                                // 0000000051CC: D3D9407C 18000080
	v_mov_b32_e32 v192, 0                                      // 0000000051D4: 7F800280
	v_accvgpr_write_b32 a125, 0                                // 0000000051D8: D3D9407D 18000080
	v_mov_b32_e32 v193, 0                                      // 0000000051E0: 7F820280
	v_accvgpr_write_b32 a126, 0                                // 0000000051E4: D3D9407E 18000080
	v_mov_b32_e32 v194, 0                                      // 0000000051EC: 7F840280
	v_accvgpr_write_b32 a127, 0                                // 0000000051F0: D3D9407F 18000080
	v_mov_b32_e32 v195, 0                                      // 0000000051F8: 7F860280
	v_accvgpr_write_b32 a128, 0                                // 0000000051FC: D3D94080 18000080
	v_mov_b32_e32 v196, 0                                      // 000000005204: 7F880280
	v_accvgpr_write_b32 a129, 0                                // 000000005208: D3D94081 18000080
	v_mov_b32_e32 v197, 0                                      // 000000005210: 7F8A0280
	v_accvgpr_write_b32 a130, 0                                // 000000005214: D3D94082 18000080
	v_mov_b32_e32 v198, 0                                      // 00000000521C: 7F8C0280
	v_accvgpr_write_b32 a131, 0                                // 000000005220: D3D94083 18000080
	v_mov_b32_e32 v199, 0                                      // 000000005228: 7F8E0280
	v_accvgpr_write_b32 a132, 0                                // 00000000522C: D3D94084 18000080
	v_mov_b32_e32 v200, 0                                      // 000000005234: 7F900280
	v_accvgpr_write_b32 a133, 0                                // 000000005238: D3D94085 18000080
	v_mov_b32_e32 v201, 0                                      // 000000005240: 7F920280
	v_accvgpr_write_b32 a134, 0                                // 000000005244: D3D94086 18000080
	v_mov_b32_e32 v202, 0                                      // 00000000524C: 7F940280
	v_accvgpr_write_b32 a135, 0                                // 000000005250: D3D94087 18000080
	v_mov_b32_e32 v203, 0                                      // 000000005258: 7F960280
	v_accvgpr_write_b32 a136, 0                                // 00000000525C: D3D94088 18000080
	v_mov_b32_e32 v204, 0                                      // 000000005264: 7F980280
	v_accvgpr_write_b32 a137, 0                                // 000000005268: D3D94089 18000080
	v_mov_b32_e32 v205, 0                                      // 000000005270: 7F9A0280
	v_accvgpr_write_b32 a138, 0                                // 000000005274: D3D9408A 18000080
	v_mov_b32_e32 v206, 0                                      // 00000000527C: 7F9C0280
	v_accvgpr_write_b32 a139, 0                                // 000000005280: D3D9408B 18000080
	v_mov_b32_e32 v207, 0                                      // 000000005288: 7F9E0280
	v_accvgpr_write_b32 a140, 0                                // 00000000528C: D3D9408C 18000080
	v_mov_b32_e32 v208, 0                                      // 000000005294: 7FA00280
	v_accvgpr_write_b32 a141, 0                                // 000000005298: D3D9408D 18000080
	v_mov_b32_e32 v209, 0                                      // 0000000052A0: 7FA20280
	v_accvgpr_write_b32 a142, 0                                // 0000000052A4: D3D9408E 18000080
	v_mov_b32_e32 v210, 0                                      // 0000000052AC: 7FA40280
	v_accvgpr_write_b32 a143, 0                                // 0000000052B0: D3D9408F 18000080
	v_mov_b32_e32 v211, 0                                      // 0000000052B8: 7FA60280
	v_accvgpr_write_b32 a144, 0                                // 0000000052BC: D3D94090 18000080
	v_mov_b32_e32 v212, 0                                      // 0000000052C4: 7FA80280
	v_accvgpr_write_b32 a145, 0                                // 0000000052C8: D3D94091 18000080
	v_mov_b32_e32 v213, 0                                      // 0000000052D0: 7FAA0280
	v_accvgpr_write_b32 a146, 0                                // 0000000052D4: D3D94092 18000080
	v_mov_b32_e32 v214, 0                                      // 0000000052DC: 7FAC0280
	v_accvgpr_write_b32 a147, 0                                // 0000000052E0: D3D94093 18000080
	v_mov_b32_e32 v215, 0                                      // 0000000052E8: 7FAE0280
	v_accvgpr_write_b32 a148, 0                                // 0000000052EC: D3D94094 18000080
	v_mov_b32_e32 v216, 0                                      // 0000000052F4: 7FB00280
	v_accvgpr_write_b32 a149, 0                                // 0000000052F8: D3D94095 18000080
	v_mov_b32_e32 v217, 0                                      // 000000005300: 7FB20280
	v_accvgpr_write_b32 a150, 0                                // 000000005304: D3D94096 18000080
	v_mov_b32_e32 v218, 0                                      // 00000000530C: 7FB40280
	v_accvgpr_write_b32 a151, 0                                // 000000005310: D3D94097 18000080
	v_mov_b32_e32 v219, 0                                      // 000000005318: 7FB60280
	v_accvgpr_write_b32 a152, 0                                // 00000000531C: D3D94098 18000080
	v_mov_b32_e32 v220, 0                                      // 000000005324: 7FB80280
	v_accvgpr_write_b32 a153, 0                                // 000000005328: D3D94099 18000080
	v_mov_b32_e32 v221, 0                                      // 000000005330: 7FBA0280
	v_accvgpr_write_b32 a154, 0                                // 000000005334: D3D9409A 18000080
	v_mov_b32_e32 v222, 0                                      // 00000000533C: 7FBC0280
	v_accvgpr_write_b32 a155, 0                                // 000000005340: D3D9409B 18000080
	v_mov_b32_e32 v223, 0                                      // 000000005348: 7FBE0280
	v_accvgpr_write_b32 a156, 0                                // 00000000534C: D3D9409C 18000080
	v_mov_b32_e32 v224, 0                                      // 000000005354: 7FC00280
	v_accvgpr_write_b32 a157, 0                                // 000000005358: D3D9409D 18000080
	v_mov_b32_e32 v225, 0                                      // 000000005360: 7FC20280
	v_accvgpr_write_b32 a158, 0                                // 000000005364: D3D9409E 18000080
	v_mov_b32_e32 v226, 0                                      // 00000000536C: 7FC40280
	v_accvgpr_write_b32 a159, 0                                // 000000005370: D3D9409F 18000080
	v_mov_b32_e32 v227, 0                                      // 000000005378: 7FC60280
	v_mov_b32_e32 v156, 0                                      // 00000000537C: 7F380280
	v_mov_b32_e32 v157, 0                                      // 000000005380: 7F3A0280
	v_mov_b32_e32 v158, 0                                      // 000000005384: 7F3C0280
	v_mov_b32_e32 v159, 0                                      // 000000005388: 7F3E0280
	v_mov_b32_e32 v160, 0                                      // 00000000538C: 7F400280
	v_mov_b32_e32 v161, 0                                      // 000000005390: 7F420280
	v_mov_b32_e32 v162, 0                                      // 000000005394: 7F440280
	v_mov_b32_e32 v163, 0                                      // 000000005398: 7F460280
	v_mov_b32_e32 v148, 0                                      // 00000000539C: 7F280280
	v_mov_b32_e32 v149, 0                                      // 0000000053A0: 7F2A0280
	v_mov_b32_e32 v150, 0                                      // 0000000053A4: 7F2C0280
	v_mov_b32_e32 v151, 0                                      // 0000000053A8: 7F2E0280
	v_mov_b32_e32 v152, 0                                      // 0000000053AC: 7F300280
	v_mov_b32_e32 v153, 0                                      // 0000000053B0: 7F320280
	v_mov_b32_e32 v154, 0                                      // 0000000053B4: 7F340280
	v_mov_b32_e32 v155, 0                                      // 0000000053B8: 7F360280
	s_waitcnt lgkmcnt(0)                                       // 0000000053BC: BF8CC07F
	s_barrier                                                  // 0000000053C0: BF8A0000
	buffer_load_dword v36, v1, s[8:11], 0 idxen                // 0000000053C4: E0502000 80022401
	buffer_load_dword v37, v2, s[8:11], 0 idxen                // 0000000053CC: E0502000 80022502
	buffer_load_dword v38, v3, s[8:11], 0 idxen                // 0000000053D4: E0502000 80022603
	buffer_load_dword v39, v4, s[8:11], 0 idxen                // 0000000053DC: E0502000 80022704
	buffer_load_dword v44, v1, s[20:23], 0 idxen               // 0000000053E4: E0502000 80052C01
	buffer_load_dword v45, v2, s[20:23], 0 idxen               // 0000000053EC: E0502000 80052D02
	buffer_load_dword v46, v3, s[20:23], 0 idxen               // 0000000053F4: E0502000 80052E03
	buffer_load_dword v47, v4, s[20:23], 0 idxen               // 0000000053FC: E0502000 80052F04
	buffer_load_dword v11, s[24:27], 0 idxen lds               // 000000005404: E0512000 8006000B
	s_add_u32 s60, 0x60, s59                                   // 00000000540C: 803C3BFF 00000060
	s_cmp_lt_u32 s60, s58                                      // 000000005414: BF0A3A3C
	s_cselect_b32 s68, s68, 0                                  // 000000005418: 85448044
	s_cselect_b32 s69, s69, 0                                  // 00000000541C: 85458045
	s_mov_b32 m0, s79                                          // 000000005420: BEFC004F
	v_add_u32_e32 v11, s69, v11                                // 000000005424: 68161645
	s_add_u32 s8, s68, s8                                      // 000000005428: 80080844
	s_addc_u32 s9, 0, s9                                       // 00000000542C: 82090980
	s_add_u32 s20, s68, s20                                    // 000000005430: 80141444
	s_addc_u32 s21, 0, s21                                     // 000000005434: 82151580
	v_mul_f32_e32 v140, s49, v140                              // 000000005438: 0B191831
	v_mul_f32_e32 v144, s49, v144                              // 00000000543C: 0B212031
	v_perm_b32 v100, v41, v40, s63                             // 000000005440: D1ED0064 00FE5129
	v_perm_b32 v101, v41, v40, s64                             // 000000005448: D1ED0065 01025129
	v_perm_b32 v102, v43, v42, s63                             // 000000005450: D1ED0066 00FE552B
	v_perm_b32 v103, v43, v42, s64                             // 000000005458: D1ED0067 0102552B
	v_perm_b32 v104, v49, v48, s63                             // 000000005460: D1ED0068 00FE6131
	v_perm_b32 v105, v49, v48, s64                             // 000000005468: D1ED0069 01026131
	v_perm_b32 v106, v51, v50, s63                             // 000000005470: D1ED006A 00FE6533
	v_perm_b32 v107, v51, v50, s64                             // 000000005478: D1ED006B 01026533
	v_mov_b32_dpp v143, v140 quad_perm:[3,3,3,3] row_mask:0xf bank_mask:0xf// 000000005480: 7F1E02FA FF00FF8C
	v_mov_b32_dpp v142, v140 quad_perm:[2,2,2,2] row_mask:0xf bank_mask:0xf// 000000005488: 7F1C02FA FF00AA8C
	v_mov_b32_dpp v141, v140 quad_perm:[1,1,1,1] row_mask:0xf bank_mask:0xf// 000000005490: 7F1A02FA FF00558C
	v_mov_b32_dpp v140, v140 quad_perm:[0,0,0,0] row_mask:0xf bank_mask:0xf// 000000005498: 7F1802FA FF00008C
	v_mov_b32_dpp v147, v144 quad_perm:[3,3,3,3] row_mask:0xf bank_mask:0xf// 0000000054A0: 7F2602FA FF00FF90
	v_mov_b32_dpp v146, v144 quad_perm:[2,2,2,2] row_mask:0xf bank_mask:0xf// 0000000054A8: 7F2402FA FF00AA90
	v_mov_b32_dpp v145, v144 quad_perm:[1,1,1,1] row_mask:0xf bank_mask:0xf// 0000000054B0: 7F2202FA FF005590
	v_mov_b32_dpp v144, v144 quad_perm:[0,0,0,0] row_mask:0xf bank_mask:0xf// 0000000054B8: 7F2002FA FF000090
	s_waitcnt vmcnt(9)                                         // 0000000054C0: BF8C0F79
	s_barrier                                                  // 0000000054C4: BF8A0000
	s_cmp_lt_i32 s47, 2                                        // 0000000054C8: BF04822F
	s_cbranch_scc0 label_0D19                                  // 0000000054CC: BF840765
	s_nop 0                                                    // 0000000054D0: BF800000
	s_nop 0                                                    // 0000000054D4: BF800000
	s_nop 0                                                    // 0000000054D8: BF800000

00000000000054dc <label_05B7>:
	s_waitcnt lgkmcnt(4)                                       // 0000000054DC: BF8CC47F
	s_barrier                                                  // 0000000054E0: BF8A0000
	v_mfma_f32_16x16x16_f16 v[52:55], a[96:97], a[0:1], 0      // 0000000054E4: D3CD0034 1A020160
	ds_write_b32 v13, v48 offset:8704                          // 0000000054EC: D81A2200 0000300D
	ds_write_b32 v13, v49 offset:9760                          // 0000000054F4: D81A2620 0000310D
	v_mfma_f32_16x16x16_f16 v[52:55], a[98:99], a[2:3], v[52:55]// 0000000054FC: D3CD0034 1CD20562
	v_mul_f32_e32 v148, s48, v148                              // 000000005504: 0B292830
	v_mul_f32_e32 v149, s48, v149                              // 000000005508: 0B2B2A30
	v_mfma_f32_16x16x16_f16 v[52:55], a[100:101], a[4:5], v[52:55]// 00000000550C: D3CD0034 1CD20964
	ds_write_b32 v13, v50 offset:10880                         // 000000005514: D81A2A80 0000320D
	ds_write_b32 v13, v51 offset:11936                         // 00000000551C: D81A2EA0 0000330D
	v_mfma_f32_16x16x16_f16 v[52:55], a[102:103], a[6:7], v[52:55]// 000000005524: D3CD0034 1CD20D66
	v_mul_f32_e32 v150, s48, v150                              // 00000000552C: 0B2D2C30
	v_mul_f32_e32 v151, s48, v151                              // 000000005530: 0B2F2E30
	v_mfma_f32_16x16x16_f16 v[56:59], a[96:97], a[8:9], 0      // 000000005534: D3CD0038 1A021160
	v_mul_f32_e32 v152, s48, v152                              // 00000000553C: 0B313030
	v_mul_f32_e32 v153, s48, v153                              // 000000005540: 0B333230
	v_mfma_f32_16x16x16_f16 v[56:59], a[98:99], a[10:11], v[56:59]// 000000005544: D3CD0038 1CE21562
	v_mul_f32_e32 v154, s48, v154                              // 00000000554C: 0B353430
	v_mul_f32_e32 v155, s48, v155                              // 000000005550: 0B373630
	v_mfma_f32_16x16x16_f16 v[56:59], a[100:101], a[12:13], v[56:59]// 000000005554: D3CD0038 1CE21964
	v_cvt_pkrtz_f16_f32 v148, v148, v149                       // 00000000555C: D2960094 00032B94
	v_cvt_pkrtz_f16_f32 v149, v150, v151                       // 000000005564: D2960095 00032F96
	v_mfma_f32_16x16x16_f16 v[56:59], a[102:103], a[14:15], v[56:59]// 00000000556C: D3CD0038 1CE21D66
	v_cvt_pkrtz_f16_f32 v150, v152, v153                       // 000000005574: D2960096 00033398
	v_cvt_pkrtz_f16_f32 v151, v154, v155                       // 00000000557C: D2960097 0003379A
	v_mfma_f32_16x16x16_f16 v[60:63], a[96:97], a[16:17], 0    // 000000005584: D3CD003C 1A022160
	ds_write_b64 v22, v[148:149] offset:31232                  // 00000000558C: D89A7A00 00009416
	v_mfma_f32_16x16x16_f16 v[60:63], a[98:99], a[18:19], v[60:63]// 000000005594: D3CD003C 1CF22562
	v_mfma_f32_16x16x16_f16 v[60:63], a[100:101], a[20:21], v[60:63]// 00000000559C: D3CD003C 1CF22964
	ds_write_b64 v22, v[150:151] offset:31776                  // 0000000055A4: D89A7C20 00009616
	v_mfma_f32_16x16x16_f16 v[60:63], a[102:103], a[22:23], v[60:63]// 0000000055AC: D3CD003C 1CF22D66
	v_mfma_f32_16x16x16_f16 v[64:67], a[104:105], a[0:1], 0    // 0000000055B4: D3CD0040 1A020168
	ds_read_b128 v[124:127], v14 offset:13056                  // 0000000055BC: D9FE3300 7C00000E
	ds_write_b32 v13, v40                                      // 0000000055C4: D81A0000 0000280D
	v_mfma_f32_16x16x16_f16 v[64:67], a[106:107], a[2:3], v[64:67]// 0000000055CC: D3CD0040 1D02056A
	v_mfma_f32_16x16x16_f16 v[64:67], a[108:109], a[4:5], v[64:67]// 0000000055D4: D3CD0040 1D02096C
	v_mfma_f32_16x16x16_f16 v[64:67], a[110:111], a[6:7], v[64:67]// 0000000055DC: D3CD0040 1D020D6E
	ds_read_b128 v[128:131], v14 offset:13568                  // 0000000055E4: D9FE3500 8000000E
	ds_write_b32 v13, v41 offset:1056                          // 0000000055EC: D81A0420 0000290D
	v_mfma_f32_16x16x16_f16 v[68:71], a[104:105], a[8:9], 0    // 0000000055F4: D3CD0044 1A021168
	v_mfma_f32_16x16x16_f16 v[68:71], a[106:107], a[10:11], v[68:71]// 0000000055FC: D3CD0044 1D12156A
	v_mfma_f32_16x16x16_f16 v[68:71], a[108:109], a[12:13], v[68:71]// 000000005604: D3CD0044 1D12196C
	ds_read_b128 v[132:135], v14 offset:15232                  // 00000000560C: D9FE3B80 8400000E
	ds_write_b32 v13, v42 offset:2176                          // 000000005614: D81A0880 00002A0D
	v_mfma_f32_16x16x16_f16 v[68:71], a[110:111], a[14:15], v[68:71]// 00000000561C: D3CD0044 1D121D6E
	v_mfma_f32_16x16x16_f16 v[72:75], a[104:105], a[16:17], 0  // 000000005624: D3CD0048 1A022168
	v_mfma_f32_16x16x16_f16 v[72:75], a[106:107], a[18:19], v[72:75]// 00000000562C: D3CD0048 1D22256A
	ds_read_b128 v[136:139], v14 offset:15744                  // 000000005634: D9FE3D80 8800000E
	ds_write_b32 v13, v43 offset:3232                          // 00000000563C: D81A0CA0 00002B0D
	v_mfma_f32_16x16x16_f16 v[72:75], a[108:109], a[20:21], v[72:75]// 000000005644: D3CD0048 1D22296C
	v_mfma_f32_16x16x16_f16 v[72:75], a[110:111], a[22:23], v[72:75]// 00000000564C: D3CD0048 1D222D6E
	s_cmp_lt_i32 s74, 12                                       // 000000005654: BF048C4A
	s_cbranch_scc0 label_06FD                                  // 000000005658: BF8400E6
	s_mov_b32 s60, 0xffe0fffe                                  // 00000000565C: BEBC00FF FFE0FFFE
	s_mov_b32 s61, 0xe000fe00                                  // 000000005664: BEBD00FF E000FE00
	s_nop 0                                                    // 00000000566C: BF800000
	s_add_u32 s62, 0, s47                                      // 000000005670: 803E2F80
	s_cmp_lt_i32 s74, s62                                      // 000000005674: BF043E4A
	s_cbranch_scc1 label_0647                                  // 000000005678: BF850028
	s_cmp_eq_i32 s74, s62                                      // 00000000567C: BF003E4A
	s_cbranch_scc1 label_062C                                  // 000000005680: BF85000B
	s_add_u32 s62, 4, s47                                      // 000000005684: 803E2F84
	s_cmp_lt_i32 s74, s62                                      // 000000005688: BF043E4A
	s_cbranch_scc1 label_0667                                  // 00000000568C: BF850043
	s_cmp_eq_i32 s74, s62                                      // 000000005690: BF003E4A
	s_cbranch_scc1 label_064C                                  // 000000005694: BF850026
	s_add_u32 s62, 8, s47                                      // 000000005698: 803E2F88
	s_cmp_lt_i32 s74, s62                                      // 00000000569C: BF043E4A
	s_cbranch_scc1 label_0687                                  // 0000000056A0: BF85005E
	s_cmp_eq_i32 s74, s62                                      // 0000000056A4: BF003E4A
	s_cbranch_scc1 label_066C                                  // 0000000056A8: BF850041
	s_branch label_068C                                        // 0000000056AC: BF820060

00000000000056b0 <label_062C>:
	v_cndmask_b32_e64 v52, v52, v178, s[60:61]                 // 0000000056B0: D1000034 00F36534
	s_lshl_b32 s60, s60, 1                                     // 0000000056B8: 8E3C813C
	s_lshl_b32 s61, s61, 1                                     // 0000000056BC: 8E3D813D
	s_and_b32 s60, 0xfffeffff, s60                             // 0000000056C0: 863C3CFF FFFEFFFF
	s_and_b32 s61, 0xfffeffff, s61                             // 0000000056C8: 863D3DFF FFFEFFFF
	v_cndmask_b32_e64 v53, v53, v178, s[60:61]                 // 0000000056D0: D1000035 00F36535
	s_lshl_b32 s60, s60, 1                                     // 0000000056D8: 8E3C813C
	s_lshl_b32 s61, s61, 1                                     // 0000000056DC: 8E3D813D
	s_and_b32 s60, 0xfffeffff, s60                             // 0000000056E0: 863C3CFF FFFEFFFF
	s_and_b32 s61, 0xfffeffff, s61                             // 0000000056E8: 863D3DFF FFFEFFFF
	v_cndmask_b32_e64 v54, v54, v178, s[60:61]                 // 0000000056F0: D1000036 00F36536
	s_lshl_b32 s60, s60, 1                                     // 0000000056F8: 8E3C813C
	s_lshl_b32 s61, s61, 1                                     // 0000000056FC: 8E3D813D
	s_and_b32 s60, 0xfffeffff, s60                             // 000000005700: 863C3CFF FFFEFFFF
	s_and_b32 s61, 0xfffeffff, s61                             // 000000005708: 863D3DFF FFFEFFFF
	v_cndmask_b32_e64 v55, v55, v178, s[60:61]                 // 000000005710: D1000037 00F36537
	s_branch label_0667                                        // 000000005718: BF820020

000000000000571c <label_0647>:
	v_mov_b32_e32 v52, v178                                    // 00000000571C: 7E6803B2
	v_mov_b32_e32 v53, v178                                    // 000000005720: 7E6A03B2
	v_mov_b32_e32 v54, v178                                    // 000000005724: 7E6C03B2
	v_mov_b32_e32 v55, v178                                    // 000000005728: 7E6E03B2
	s_branch label_0667                                        // 00000000572C: BF82001B

0000000000005730 <label_064C>:
	v_cndmask_b32_e64 v56, v56, v178, s[60:61]                 // 000000005730: D1000038 00F36538
	s_lshl_b32 s60, s60, 1                                     // 000000005738: 8E3C813C
	s_lshl_b32 s61, s61, 1                                     // 00000000573C: 8E3D813D
	s_and_b32 s60, 0xfffeffff, s60                             // 000000005740: 863C3CFF FFFEFFFF
	s_and_b32 s61, 0xfffeffff, s61                             // 000000005748: 863D3DFF FFFEFFFF
	v_cndmask_b32_e64 v57, v57, v178, s[60:61]                 // 000000005750: D1000039 00F36539
	s_lshl_b32 s60, s60, 1                                     // 000000005758: 8E3C813C
	s_lshl_b32 s61, s61, 1                                     // 00000000575C: 8E3D813D
	s_and_b32 s60, 0xfffeffff, s60                             // 000000005760: 863C3CFF FFFEFFFF
	s_and_b32 s61, 0xfffeffff, s61                             // 000000005768: 863D3DFF FFFEFFFF
	v_cndmask_b32_e64 v58, v58, v178, s[60:61]                 // 000000005770: D100003A 00F3653A
	s_lshl_b32 s60, s60, 1                                     // 000000005778: 8E3C813C
	s_lshl_b32 s61, s61, 1                                     // 00000000577C: 8E3D813D
	s_and_b32 s60, 0xfffeffff, s60                             // 000000005780: 863C3CFF FFFEFFFF
	s_and_b32 s61, 0xfffeffff, s61                             // 000000005788: 863D3DFF FFFEFFFF
	v_cndmask_b32_e64 v59, v59, v178, s[60:61]                 // 000000005790: D100003B 00F3653B
	s_branch label_0687                                        // 000000005798: BF820020

000000000000579c <label_0667>:
	v_mov_b32_e32 v56, v178                                    // 00000000579C: 7E7003B2
	v_mov_b32_e32 v57, v178                                    // 0000000057A0: 7E7203B2
	v_mov_b32_e32 v58, v178                                    // 0000000057A4: 7E7403B2
	v_mov_b32_e32 v59, v178                                    // 0000000057A8: 7E7603B2
	s_branch label_0687                                        // 0000000057AC: BF82001B

00000000000057b0 <label_066C>:
	v_cndmask_b32_e64 v60, v60, v178, s[60:61]                 // 0000000057B0: D100003C 00F3653C
	s_lshl_b32 s60, s60, 1                                     // 0000000057B8: 8E3C813C
	s_lshl_b32 s61, s61, 1                                     // 0000000057BC: 8E3D813D
	s_and_b32 s60, 0xfffeffff, s60                             // 0000000057C0: 863C3CFF FFFEFFFF
	s_and_b32 s61, 0xfffeffff, s61                             // 0000000057C8: 863D3DFF FFFEFFFF
	v_cndmask_b32_e64 v61, v61, v178, s[60:61]                 // 0000000057D0: D100003D 00F3653D
	s_lshl_b32 s60, s60, 1                                     // 0000000057D8: 8E3C813C
	s_lshl_b32 s61, s61, 1                                     // 0000000057DC: 8E3D813D
	s_and_b32 s60, 0xfffeffff, s60                             // 0000000057E0: 863C3CFF FFFEFFFF
	s_and_b32 s61, 0xfffeffff, s61                             // 0000000057E8: 863D3DFF FFFEFFFF
	v_cndmask_b32_e64 v62, v62, v178, s[60:61]                 // 0000000057F0: D100003E 00F3653E
	s_lshl_b32 s60, s60, 1                                     // 0000000057F8: 8E3C813C
	s_lshl_b32 s61, s61, 1                                     // 0000000057FC: 8E3D813D
	s_and_b32 s60, 0xfffeffff, s60                             // 000000005800: 863C3CFF FFFEFFFF
	s_and_b32 s61, 0xfffeffff, s61                             // 000000005808: 863D3DFF FFFEFFFF
	v_cndmask_b32_e64 v63, v63, v178, s[60:61]                 // 000000005810: D100003F 00F3653F
	s_branch label_068C                                        // 000000005818: BF820005

000000000000581c <label_0687>:
	v_mov_b32_e32 v60, v178                                    // 00000000581C: 7E7803B2
	v_mov_b32_e32 v61, v178                                    // 000000005820: 7E7A03B2
	v_mov_b32_e32 v62, v178                                    // 000000005824: 7E7C03B2
	v_mov_b32_e32 v63, v178                                    // 000000005828: 7E7E03B2
	s_branch label_068C                                        // 00000000582C: BF820000

0000000000005830 <label_068C>:
	s_addk_i32 s74, 0x1                                        // 000000005830: B74A0001
	s_add_u32 s62, 0, s47                                      // 000000005834: 803E2F80
	s_cmp_lt_i32 s74, s62                                      // 000000005838: BF043E4A
	s_cbranch_scc1 label_06B8                                  // 00000000583C: BF850028
	s_cmp_eq_i32 s74, s62                                      // 000000005840: BF003E4A
	s_cbranch_scc1 label_069D                                  // 000000005844: BF85000B
	s_add_u32 s62, 4, s47                                      // 000000005848: 803E2F84
	s_cmp_lt_i32 s74, s62                                      // 00000000584C: BF043E4A
	s_cbranch_scc1 label_06D8                                  // 000000005850: BF850043
	s_cmp_eq_i32 s74, s62                                      // 000000005854: BF003E4A
	s_cbranch_scc1 label_06BD                                  // 000000005858: BF850026
	s_add_u32 s62, 8, s47                                      // 00000000585C: 803E2F88
	s_cmp_lt_i32 s74, s62                                      // 000000005860: BF043E4A
	s_cbranch_scc1 label_06F8                                  // 000000005864: BF85005E
	s_cmp_eq_i32 s74, s62                                      // 000000005868: BF003E4A
	s_cbranch_scc1 label_06DD                                  // 00000000586C: BF850041
	s_branch label_06FD                                        // 000000005870: BF820060

0000000000005874 <label_069D>:
	v_cndmask_b32_e64 v64, v64, v178, s[60:61]                 // 000000005874: D1000040 00F36540
	s_lshl_b32 s60, s60, 1                                     // 00000000587C: 8E3C813C
	s_lshl_b32 s61, s61, 1                                     // 000000005880: 8E3D813D
	s_and_b32 s60, 0xfffeffff, s60                             // 000000005884: 863C3CFF FFFEFFFF
	s_and_b32 s61, 0xfffeffff, s61                             // 00000000588C: 863D3DFF FFFEFFFF
	v_cndmask_b32_e64 v65, v65, v178, s[60:61]                 // 000000005894: D1000041 00F36541
	s_lshl_b32 s60, s60, 1                                     // 00000000589C: 8E3C813C
	s_lshl_b32 s61, s61, 1                                     // 0000000058A0: 8E3D813D
	s_and_b32 s60, 0xfffeffff, s60                             // 0000000058A4: 863C3CFF FFFEFFFF
	s_and_b32 s61, 0xfffeffff, s61                             // 0000000058AC: 863D3DFF FFFEFFFF
	v_cndmask_b32_e64 v66, v66, v178, s[60:61]                 // 0000000058B4: D1000042 00F36542
	s_lshl_b32 s60, s60, 1                                     // 0000000058BC: 8E3C813C
	s_lshl_b32 s61, s61, 1                                     // 0000000058C0: 8E3D813D
	s_and_b32 s60, 0xfffeffff, s60                             // 0000000058C4: 863C3CFF FFFEFFFF
	s_and_b32 s61, 0xfffeffff, s61                             // 0000000058CC: 863D3DFF FFFEFFFF
	v_cndmask_b32_e64 v67, v67, v178, s[60:61]                 // 0000000058D4: D1000043 00F36543
	s_branch label_06D8                                        // 0000000058DC: BF820020

00000000000058e0 <label_06B8>:
	v_mov_b32_e32 v64, v178                                    // 0000000058E0: 7E8003B2
	v_mov_b32_e32 v65, v178                                    // 0000000058E4: 7E8203B2
	v_mov_b32_e32 v66, v178                                    // 0000000058E8: 7E8403B2
	v_mov_b32_e32 v67, v178                                    // 0000000058EC: 7E8603B2
	s_branch label_06D8                                        // 0000000058F0: BF82001B

00000000000058f4 <label_06BD>:
	v_cndmask_b32_e64 v68, v68, v178, s[60:61]                 // 0000000058F4: D1000044 00F36544
	s_lshl_b32 s60, s60, 1                                     // 0000000058FC: 8E3C813C
	s_lshl_b32 s61, s61, 1                                     // 000000005900: 8E3D813D
	s_and_b32 s60, 0xfffeffff, s60                             // 000000005904: 863C3CFF FFFEFFFF
	s_and_b32 s61, 0xfffeffff, s61                             // 00000000590C: 863D3DFF FFFEFFFF
	v_cndmask_b32_e64 v69, v69, v178, s[60:61]                 // 000000005914: D1000045 00F36545
	s_lshl_b32 s60, s60, 1                                     // 00000000591C: 8E3C813C
	s_lshl_b32 s61, s61, 1                                     // 000000005920: 8E3D813D
	s_and_b32 s60, 0xfffeffff, s60                             // 000000005924: 863C3CFF FFFEFFFF
	s_and_b32 s61, 0xfffeffff, s61                             // 00000000592C: 863D3DFF FFFEFFFF
	v_cndmask_b32_e64 v70, v70, v178, s[60:61]                 // 000000005934: D1000046 00F36546
	s_lshl_b32 s60, s60, 1                                     // 00000000593C: 8E3C813C
	s_lshl_b32 s61, s61, 1                                     // 000000005940: 8E3D813D
	s_and_b32 s60, 0xfffeffff, s60                             // 000000005944: 863C3CFF FFFEFFFF
	s_and_b32 s61, 0xfffeffff, s61                             // 00000000594C: 863D3DFF FFFEFFFF
	v_cndmask_b32_e64 v71, v71, v178, s[60:61]                 // 000000005954: D1000047 00F36547
	s_branch label_06F8                                        // 00000000595C: BF820020

0000000000005960 <label_06D8>:
	v_mov_b32_e32 v68, v178                                    // 000000005960: 7E8803B2
	v_mov_b32_e32 v69, v178                                    // 000000005964: 7E8A03B2
	v_mov_b32_e32 v70, v178                                    // 000000005968: 7E8C03B2
	v_mov_b32_e32 v71, v178                                    // 00000000596C: 7E8E03B2
	s_branch label_06F8                                        // 000000005970: BF82001B

0000000000005974 <label_06DD>:
	v_cndmask_b32_e64 v72, v72, v178, s[60:61]                 // 000000005974: D1000048 00F36548
	s_lshl_b32 s60, s60, 1                                     // 00000000597C: 8E3C813C
	s_lshl_b32 s61, s61, 1                                     // 000000005980: 8E3D813D
	s_and_b32 s60, 0xfffeffff, s60                             // 000000005984: 863C3CFF FFFEFFFF
	s_and_b32 s61, 0xfffeffff, s61                             // 00000000598C: 863D3DFF FFFEFFFF
	v_cndmask_b32_e64 v73, v73, v178, s[60:61]                 // 000000005994: D1000049 00F36549
	s_lshl_b32 s60, s60, 1                                     // 00000000599C: 8E3C813C
	s_lshl_b32 s61, s61, 1                                     // 0000000059A0: 8E3D813D
	s_and_b32 s60, 0xfffeffff, s60                             // 0000000059A4: 863C3CFF FFFEFFFF
	s_and_b32 s61, 0xfffeffff, s61                             // 0000000059AC: 863D3DFF FFFEFFFF
	v_cndmask_b32_e64 v74, v74, v178, s[60:61]                 // 0000000059B4: D100004A 00F3654A
	s_lshl_b32 s60, s60, 1                                     // 0000000059BC: 8E3C813C
	s_lshl_b32 s61, s61, 1                                     // 0000000059C0: 8E3D813D
	s_and_b32 s60, 0xfffeffff, s60                             // 0000000059C4: 863C3CFF FFFEFFFF
	s_and_b32 s61, 0xfffeffff, s61                             // 0000000059CC: 863D3DFF FFFEFFFF
	v_cndmask_b32_e64 v75, v75, v178, s[60:61]                 // 0000000059D4: D100004B 00F3654B
	s_branch label_06FD                                        // 0000000059DC: BF820005

00000000000059e0 <label_06F8>:
	v_mov_b32_e32 v72, v178                                    // 0000000059E0: 7E9003B2
	v_mov_b32_e32 v73, v178                                    // 0000000059E4: 7E9203B2
	v_mov_b32_e32 v74, v178                                    // 0000000059E8: 7E9403B2
	v_mov_b32_e32 v75, v178                                    // 0000000059EC: 7E9603B2
	s_branch label_06FD                                        // 0000000059F0: BF820000

00000000000059f4 <label_06FD>:
	s_addk_i32 s74, 0x1                                        // 0000000059F4: B74A0001
	s_waitcnt lgkmcnt(8)                                       // 0000000059F8: BF8CC87F
	s_barrier                                                  // 0000000059FC: BF8A0000
	v_mfma_f32_16x16x16_f16 v[76:79], v[108:109], a[72:73], 0  // 000000005A00: D3CD004C 1202916C
	ds_read_b128 a[96:99], v14 offset:4352                     // 000000005A08: DBFE1100 6000000E
	ds_read_b128 a[100:103], v14 offset:4864                   // 000000005A10: DBFE1300 6400000E
	v_mfma_f32_16x16x16_f16 v[76:79], v[110:111], a[74:75], v[76:79]// 000000005A18: D3CD004C 1532956E
	v_fma_f32 v52, v52, s57, -v140                             // 000000005A20: D1CB0034 86307334
	v_fma_f32 v53, v53, s57, -v141                             // 000000005A28: D1CB0035 86347335
	v_fma_f32 v54, v54, s57, -v142                             // 000000005A30: D1CB0036 86387336
	v_fma_f32 v55, v55, s57, -v143                             // 000000005A38: D1CB0037 863C7337
	v_fma_f32 v56, v56, s57, -v140                             // 000000005A40: D1CB0038 86307338
	v_fma_f32 v57, v57, s57, -v141                             // 000000005A48: D1CB0039 86347339
	v_mfma_f32_16x16x16_f16 v[76:79], v[112:113], a[76:77], v[76:79]// 000000005A50: D3CD004C 15329970
	v_fma_f32 v58, v58, s57, -v142                             // 000000005A58: D1CB003A 8638733A
	v_fma_f32 v59, v59, s57, -v143                             // 000000005A60: D1CB003B 863C733B
	v_fma_f32 v60, v60, s57, -v140                             // 000000005A68: D1CB003C 8630733C
	v_fma_f32 v61, v61, s57, -v141                             // 000000005A70: D1CB003D 8634733D
	v_fma_f32 v62, v62, s57, -v142                             // 000000005A78: D1CB003E 8638733E
	v_fma_f32 v63, v63, s57, -v143                             // 000000005A80: D1CB003F 863C733F
	v_mfma_f32_16x16x16_f16 v[76:79], v[114:115], a[78:79], v[76:79]// 000000005A88: D3CD004C 15329D72
	v_fma_f32 v64, v64, s57, -v144                             // 000000005A90: D1CB0040 86407340
	v_fma_f32 v65, v65, s57, -v145                             // 000000005A98: D1CB0041 86447341
	v_fma_f32 v66, v66, s57, -v146                             // 000000005AA0: D1CB0042 86487342
	v_fma_f32 v67, v67, s57, -v147                             // 000000005AA8: D1CB0043 864C7343
	v_fma_f32 v68, v68, s57, -v144                             // 000000005AB0: D1CB0044 86407344
	v_fma_f32 v69, v69, s57, -v145                             // 000000005AB8: D1CB0045 86447345
	v_mfma_f32_16x16x16_f16 v[80:83], v[108:109], a[80:81], 0  // 000000005AC0: D3CD0050 1202A16C
	ds_read_b128 a[104:107], v14 offset:6528                   // 000000005AC8: DBFE1980 6800000E
	ds_read_b128 a[108:111], v14 offset:7040                   // 000000005AD0: DBFE1B80 6C00000E
	v_mfma_f32_16x16x16_f16 v[80:83], v[110:111], a[82:83], v[80:83]// 000000005AD8: D3CD0050 1542A56E
	v_fma_f32 v70, v70, s57, -v146                             // 000000005AE0: D1CB0046 86487346
	v_fma_f32 v71, v71, s57, -v147                             // 000000005AE8: D1CB0047 864C7347
	v_fma_f32 v72, v72, s57, -v144                             // 000000005AF0: D1CB0048 86407348
	v_fma_f32 v73, v73, s57, -v145                             // 000000005AF8: D1CB0049 86447349
	v_fma_f32 v74, v74, s57, -v146                             // 000000005B00: D1CB004A 8648734A
	v_fma_f32 v75, v75, s57, -v147                             // 000000005B08: D1CB004B 864C734B
	v_mfma_f32_16x16x16_f16 v[80:83], v[112:113], a[84:85], v[80:83]// 000000005B10: D3CD0050 1542A970
	v_exp_f32_e32 v52, v52                                     // 000000005B18: 7E684134
	v_exp_f32_e32 v53, v53                                     // 000000005B1C: 7E6A4135
	v_mfma_f32_16x16x16_f16 v[80:83], v[114:115], a[86:87], v[80:83]// 000000005B20: D3CD0050 1542AD72
	v_exp_f32_e32 v54, v54                                     // 000000005B28: 7E6C4136
	v_exp_f32_e32 v55, v55                                     // 000000005B2C: 7E6E4137
	v_mfma_f32_16x16x16_f16 v[84:87], v[108:109], a[88:89], 0  // 000000005B30: D3CD0054 1202B16C
	ds_read_b32 v156, v21 offset:31232                         // 000000005B38: D86C7A00 9C000015
	ds_read_b32 v157, v21 offset:31248                         // 000000005B40: D86C7A10 9D000015
	v_mfma_f32_16x16x16_f16 v[84:87], v[110:111], a[90:91], v[84:87]// 000000005B48: D3CD0054 1552B56E
	v_exp_f32_e32 v56, v56                                     // 000000005B50: 7E704138
	v_exp_f32_e32 v57, v57                                     // 000000005B54: 7E724139
	v_mfma_f32_16x16x16_f16 v[84:87], v[112:113], a[92:93], v[84:87]// 000000005B58: D3CD0054 1552B970
	ds_read_b32 v158, v21 offset:31264                         // 000000005B60: D86C7A20 9E000015
	ds_read_b32 v159, v21 offset:31280                         // 000000005B68: D86C7A30 9F000015
	v_mfma_f32_16x16x16_f16 v[84:87], v[114:115], a[94:95], v[84:87]// 000000005B70: D3CD0054 1552BD72
	v_exp_f32_e32 v58, v58                                     // 000000005B78: 7E74413A
	v_exp_f32_e32 v59, v59                                     // 000000005B7C: 7E76413B
	v_mfma_f32_16x16x16_f16 v[88:91], v[116:117], a[72:73], 0  // 000000005B80: D3CD0058 12029174
	v_exp_f32_e32 v60, v60                                     // 000000005B88: 7E78413C
	v_exp_f32_e32 v61, v61                                     // 000000005B8C: 7E7A413D
	v_mfma_f32_16x16x16_f16 v[88:91], v[118:119], a[74:75], v[88:91]// 000000005B90: D3CD0058 15629576
	v_exp_f32_e32 v62, v62                                     // 000000005B98: 7E7C413E
	v_exp_f32_e32 v63, v63                                     // 000000005B9C: 7E7E413F
	v_mfma_f32_16x16x16_f16 v[88:91], v[120:121], a[76:77], v[88:91]// 000000005BA0: D3CD0058 15629978
	v_exp_f32_e32 v64, v64                                     // 000000005BA8: 7E804140
	v_exp_f32_e32 v65, v65                                     // 000000005BAC: 7E824141
	v_mfma_f32_16x16x16_f16 v[88:91], v[122:123], a[78:79], v[88:91]// 000000005BB0: D3CD0058 15629D7A
	v_exp_f32_e32 v66, v66                                     // 000000005BB8: 7E844142
	v_exp_f32_e32 v67, v67                                     // 000000005BBC: 7E864143
	v_mfma_f32_16x16x16_f16 v[92:95], v[116:117], a[80:81], 0  // 000000005BC0: D3CD005C 1202A174
	v_exp_f32_e32 v68, v68                                     // 000000005BC8: 7E884144
	v_exp_f32_e32 v69, v69                                     // 000000005BCC: 7E8A4145
	v_mfma_f32_16x16x16_f16 v[92:95], v[118:119], a[82:83], v[92:95]// 000000005BD0: D3CD005C 1572A576
	v_exp_f32_e32 v70, v70                                     // 000000005BD8: 7E8C4146
	v_exp_f32_e32 v71, v71                                     // 000000005BDC: 7E8E4147
	v_mfma_f32_16x16x16_f16 v[92:95], v[120:121], a[84:85], v[92:95]// 000000005BE0: D3CD005C 1572A978
	v_exp_f32_e32 v72, v72                                     // 000000005BE8: 7E904148
	v_exp_f32_e32 v73, v73                                     // 000000005BEC: 7E924149
	v_mfma_f32_16x16x16_f16 v[92:95], v[122:123], a[86:87], v[92:95]// 000000005BF0: D3CD005C 1572AD7A
	v_exp_f32_e32 v74, v74                                     // 000000005BF8: 7E94414A
	v_exp_f32_e32 v75, v75                                     // 000000005BFC: 7E96414B
	v_mfma_f32_16x16x16_f16 v[96:99], v[116:117], a[88:89], 0  // 000000005C00: D3CD0060 1202B174
	v_cvt_pkrtz_f16_f32 v164, v52, v53                         // 000000005C08: D29600A4 00026B34
	v_cvt_pkrtz_f16_f32 v165, v54, v55                         // 000000005C10: D29600A5 00026F36
	v_cvt_pkrtz_f16_f32 v166, v56, v57                         // 000000005C18: D29600A6 00027338
	v_cvt_pkrtz_f16_f32 v167, v58, v59                         // 000000005C20: D29600A7 0002773A
	v_cvt_pkrtz_f16_f32 v168, v60, v61                         // 000000005C28: D29600A8 00027B3C
	v_cvt_pkrtz_f16_f32 v169, v62, v63                         // 000000005C30: D29600A9 00027F3E
	v_mfma_f32_16x16x16_f16 v[96:99], v[118:119], a[90:91], v[96:99]// 000000005C38: D3CD0060 1582B576
	v_cvt_pkrtz_f16_f32 v170, v64, v65                         // 000000005C40: D29600AA 00028340
	v_cvt_pkrtz_f16_f32 v171, v66, v67                         // 000000005C48: D29600AB 00028742
	v_cvt_pkrtz_f16_f32 v172, v68, v69                         // 000000005C50: D29600AC 00028B44
	v_cvt_pkrtz_f16_f32 v173, v70, v71                         // 000000005C58: D29600AD 00028F46
	v_cvt_pkrtz_f16_f32 v174, v72, v73                         // 000000005C60: D29600AE 00029348
	v_cvt_pkrtz_f16_f32 v175, v74, v75                         // 000000005C68: D29600AF 0002974A
	v_mfma_f32_16x16x16_f16 v[96:99], v[120:121], a[92:93], v[96:99]// 000000005C70: D3CD0060 1582B978
	s_add_u32 s32, s66, s32                                    // 000000005C78: 80202042
	s_addc_u32 s33, 0, s33                                     // 000000005C7C: 82212180
	v_mfma_f32_16x16x16_f16 v[96:99], v[122:123], a[94:95], v[96:99]// 000000005C80: D3CD0060 1582BD7A
	s_waitcnt lgkmcnt(0)                                       // 000000005C88: BF8CC07F
	s_barrier                                                  // 000000005C8C: BF8A0000
	v_mfma_f32_16x16x16_f16 v[180:183], v[124:125], v[164:165], v[180:183]// 000000005C90: D3CD00B4 06D3497C
	v_subrev_f32_dpp v76, v176, v76 quad_perm:[0,0,0,0] row_mask:0xf bank_mask:0xf// 000000005C98: 069898FA FF0000B0
	v_subrev_f32_dpp v77, v176, v77 quad_perm:[1,1,1,1] row_mask:0xf bank_mask:0xf// 000000005CA0: 069A9AFA FF0055B0
	v_subrev_f32_dpp v78, v176, v78 quad_perm:[2,2,2,2] row_mask:0xf bank_mask:0xf// 000000005CA8: 069C9CFA FF00AAB0
	v_subrev_f32_dpp v79, v176, v79 quad_perm:[3,3,3,3] row_mask:0xf bank_mask:0xf// 000000005CB0: 069E9EFA FF00FFB0
	v_subrev_f32_dpp v80, v176, v80 quad_perm:[0,0,0,0] row_mask:0xf bank_mask:0xf// 000000005CB8: 06A0A0FA FF0000B0
	v_subrev_f32_dpp v81, v176, v81 quad_perm:[1,1,1,1] row_mask:0xf bank_mask:0xf// 000000005CC0: 06A2A2FA FF0055B0
	v_mfma_f32_16x16x16_f16 v[184:187], v[126:127], v[164:165], v[184:187]// 000000005CC8: D3CD00B8 06E3497E
	v_subrev_f32_dpp v82, v176, v82 quad_perm:[2,2,2,2] row_mask:0xf bank_mask:0xf// 000000005CD0: 06A4A4FA FF00AAB0
	v_subrev_f32_dpp v83, v176, v83 quad_perm:[3,3,3,3] row_mask:0xf bank_mask:0xf// 000000005CD8: 06A6A6FA FF00FFB0
	v_subrev_f32_dpp v84, v176, v84 quad_perm:[0,0,0,0] row_mask:0xf bank_mask:0xf// 000000005CE0: 06A8A8FA FF0000B0
	v_subrev_f32_dpp v85, v176, v85 quad_perm:[1,1,1,1] row_mask:0xf bank_mask:0xf// 000000005CE8: 06AAAAFA FF0055B0
	v_subrev_f32_dpp v86, v176, v86 quad_perm:[2,2,2,2] row_mask:0xf bank_mask:0xf// 000000005CF0: 06ACACFA FF00AAB0
	v_subrev_f32_dpp v87, v176, v87 quad_perm:[3,3,3,3] row_mask:0xf bank_mask:0xf// 000000005CF8: 06AEAEFA FF00FFB0
	v_mfma_f32_16x16x16_f16 v[188:191], v[128:129], v[164:165], v[188:191]// 000000005D00: D3CD00BC 06F34980
	v_mul_f32_e32 v76, v52, v76                                // 000000005D08: 0A989934
	v_mul_f32_e32 v77, v53, v77                                // 000000005D0C: 0A9A9B35
	v_mul_f32_e32 v78, v54, v78                                // 000000005D10: 0A9C9D36
	v_mul_f32_e32 v79, v55, v79                                // 000000005D14: 0A9E9F37
	v_mul_f32_e32 v80, v56, v80                                // 000000005D18: 0AA0A138
	v_mul_f32_e32 v81, v57, v81                                // 000000005D1C: 0AA2A339
	v_mfma_f32_16x16x16_f16 v[192:195], v[130:131], v[164:165], v[192:195]// 000000005D20: D3CD00C0 07034982
	v_mul_f32_e32 v82, v58, v82                                // 000000005D28: 0AA4A53A
	v_mul_f32_e32 v83, v59, v83                                // 000000005D2C: 0AA6A73B
	v_mul_f32_e32 v84, v60, v84                                // 000000005D30: 0AA8A93C
	v_mul_f32_e32 v85, v61, v85                                // 000000005D34: 0AAAAB3D
	v_mul_f32_e32 v86, v62, v86                                // 000000005D38: 0AACAD3E
	v_mul_f32_e32 v87, v63, v87                                // 000000005D3C: 0AAEAF3F
	v_mfma_f32_16x16x16_f16 v[196:199], v[124:125], v[166:167], v[196:199]// 000000005D40: D3CD00C4 07134D7C
	v_cvt_pkrtz_f16_f32 v76, v76, v77                          // 000000005D48: D296004C 00029B4C
	v_cvt_pkrtz_f16_f32 v77, v78, v79                          // 000000005D50: D296004D 00029F4E
	v_cvt_pkrtz_f16_f32 v78, v80, v81                          // 000000005D58: D296004E 0002A350
	v_cvt_pkrtz_f16_f32 v79, v82, v83                          // 000000005D60: D296004F 0002A752
	v_cvt_pkrtz_f16_f32 v80, v84, v85                          // 000000005D68: D2960050 0002AB54
	v_cvt_pkrtz_f16_f32 v81, v86, v87                          // 000000005D70: D2960051 0002AF56
	v_mfma_f32_16x16x16_f16 v[200:203], v[126:127], v[166:167], v[200:203]// 000000005D78: D3CD00C8 07234D7E
	v_mov_b32_dpp v18, v76 quad_perm:[1,0,3,2] row_mask:0xf bank_mask:0xf// 000000005D80: 7E2402FA FF00B14C
	v_perm_b32 v52, v18, v76, v17                              // 000000005D88: D1ED0034 04469912
	v_mov_b32_dpp v18, v77 quad_perm:[1,0,3,2] row_mask:0xf bank_mask:0xf// 000000005D90: 7E2402FA FF00B14D
	v_perm_b32 v53, v18, v77, v17                              // 000000005D98: D1ED0035 04469B12
	v_mov_b32_dpp v18, v78 quad_perm:[1,0,3,2] row_mask:0xf bank_mask:0xf// 000000005DA0: 7E2402FA FF00B14E
	v_perm_b32 v54, v18, v78, v17                              // 000000005DA8: D1ED0036 04469D12
	v_mfma_f32_16x16x16_f16 v[204:207], v[128:129], v[166:167], v[204:207]// 000000005DB0: D3CD00CC 07334D80
	v_mov_b32_dpp v18, v79 quad_perm:[1,0,3,2] row_mask:0xf bank_mask:0xf// 000000005DB8: 7E2402FA FF00B14F
	v_perm_b32 v55, v18, v79, v17                              // 000000005DC0: D1ED0037 04469F12
	v_mov_b32_dpp v18, v80 quad_perm:[1,0,3,2] row_mask:0xf bank_mask:0xf// 000000005DC8: 7E2402FA FF00B150
	v_perm_b32 v56, v18, v80, v17                              // 000000005DD0: D1ED0038 0446A112
	v_mov_b32_dpp v18, v81 quad_perm:[1,0,3,2] row_mask:0xf bank_mask:0xf// 000000005DD8: 7E2402FA FF00B151
	v_perm_b32 v57, v18, v81, v17                              // 000000005DE0: D1ED0039 0446A312
	v_mfma_f32_16x16x16_f16 v[208:211], v[130:131], v[166:167], v[208:211]// 000000005DE8: D3CD00D0 07434D82
	ds_write_b32 v20, v52 offset:17408                         // 000000005DF0: D81A4400 00003414
	ds_write_b32 v20, v53 offset:17952                         // 000000005DF8: D81A4620 00003514
	v_mfma_f32_16x16x16_f16 v[212:215], v[124:125], v[168:169], v[212:215]// 000000005E00: D3CD00D4 0753517C
	v_subrev_f32_dpp v88, v177, v88 quad_perm:[0,0,0,0] row_mask:0xf bank_mask:0xf// 000000005E08: 06B0B0FA FF0000B1
	v_subrev_f32_dpp v89, v177, v89 quad_perm:[1,1,1,1] row_mask:0xf bank_mask:0xf// 000000005E10: 06B2B2FA FF0055B1
	v_subrev_f32_dpp v90, v177, v90 quad_perm:[2,2,2,2] row_mask:0xf bank_mask:0xf// 000000005E18: 06B4B4FA FF00AAB1
	v_subrev_f32_dpp v91, v177, v91 quad_perm:[3,3,3,3] row_mask:0xf bank_mask:0xf// 000000005E20: 06B6B6FA FF00FFB1
	v_subrev_f32_dpp v92, v177, v92 quad_perm:[0,0,0,0] row_mask:0xf bank_mask:0xf// 000000005E28: 06B8B8FA FF0000B1
	v_subrev_f32_dpp v93, v177, v93 quad_perm:[1,1,1,1] row_mask:0xf bank_mask:0xf// 000000005E30: 06BABAFA FF0055B1
	v_mfma_f32_16x16x16_f16 v[216:219], v[126:127], v[168:169], v[216:219]// 000000005E38: D3CD00D8 0763517E
	ds_write_b32 v20, v54 offset:19712                         // 000000005E40: D81A4D00 00003614
	ds_write_b32 v20, v55 offset:20256                         // 000000005E48: D81A4F20 00003714
	v_mfma_f32_16x16x16_f16 v[220:223], v[128:129], v[168:169], v[220:223]// 000000005E50: D3CD00DC 07735180
	v_subrev_f32_dpp v94, v177, v94 quad_perm:[2,2,2,2] row_mask:0xf bank_mask:0xf// 000000005E58: 06BCBCFA FF00AAB1
	v_subrev_f32_dpp v95, v177, v95 quad_perm:[3,3,3,3] row_mask:0xf bank_mask:0xf// 000000005E60: 06BEBEFA FF00FFB1
	v_subrev_f32_dpp v96, v177, v96 quad_perm:[0,0,0,0] row_mask:0xf bank_mask:0xf// 000000005E68: 06C0C0FA FF0000B1
	v_subrev_f32_dpp v97, v177, v97 quad_perm:[1,1,1,1] row_mask:0xf bank_mask:0xf// 000000005E70: 06C2C2FA FF0055B1
	v_subrev_f32_dpp v98, v177, v98 quad_perm:[2,2,2,2] row_mask:0xf bank_mask:0xf// 000000005E78: 06C4C4FA FF00AAB1
	v_subrev_f32_dpp v99, v177, v99 quad_perm:[3,3,3,3] row_mask:0xf bank_mask:0xf// 000000005E80: 06C6C6FA FF00FFB1
	v_mfma_f32_16x16x16_f16 v[224:227], v[130:131], v[168:169], v[224:227]// 000000005E88: D3CD00E0 07835182
	ds_write_b32 v20, v56 offset:22016                         // 000000005E90: D81A5600 00003814
	ds_write_b32 v20, v57 offset:22560                         // 000000005E98: D81A5820 00003914
	v_mfma_f32_16x16x16_f16 v[180:183], v[132:133], v[170:171], v[180:183]// 000000005EA0: D3CD00B4 06D35584
	v_mul_f32_e32 v88, v64, v88                                // 000000005EA8: 0AB0B140
	v_mul_f32_e32 v89, v65, v89                                // 000000005EAC: 0AB2B341
	v_mul_f32_e32 v90, v66, v90                                // 000000005EB0: 0AB4B542
	v_mul_f32_e32 v91, v67, v91                                // 000000005EB4: 0AB6B743
	v_mul_f32_e32 v92, v68, v92                                // 000000005EB8: 0AB8B944
	v_mul_f32_e32 v93, v69, v93                                // 000000005EBC: 0ABABB45
	v_mfma_f32_16x16x16_f16 v[184:187], v[134:135], v[170:171], v[184:187]// 000000005EC0: D3CD00B8 06E35586
	v_mul_f32_e32 v94, v70, v94                                // 000000005EC8: 0ABCBD46
	v_mul_f32_e32 v95, v71, v95                                // 000000005ECC: 0ABEBF47
	v_mul_f32_e32 v96, v72, v96                                // 000000005ED0: 0AC0C148
	v_mul_f32_e32 v97, v73, v97                                // 000000005ED4: 0AC2C349
	v_mul_f32_e32 v98, v74, v98                                // 000000005ED8: 0AC4C54A
	v_mul_f32_e32 v99, v75, v99                                // 000000005EDC: 0AC6C74B
	v_mfma_f32_16x16x16_f16 v[188:191], v[136:137], v[170:171], v[188:191]// 000000005EE0: D3CD00BC 06F35588
	v_cvt_pkrtz_f16_f32 v82, v88, v89                          // 000000005EE8: D2960052 0002B358
	v_cvt_pkrtz_f16_f32 v83, v90, v91                          // 000000005EF0: D2960053 0002B75A
	v_cvt_pkrtz_f16_f32 v84, v92, v93                          // 000000005EF8: D2960054 0002BB5C
	v_cvt_pkrtz_f16_f32 v85, v94, v95                          // 000000005F00: D2960055 0002BF5E
	v_cvt_pkrtz_f16_f32 v86, v96, v97                          // 000000005F08: D2960056 0002C360
	v_cvt_pkrtz_f16_f32 v87, v98, v99                          // 000000005F10: D2960057 0002C762
	v_mfma_f32_16x16x16_f16 v[192:195], v[138:139], v[170:171], v[192:195]// 000000005F18: D3CD00C0 0703558A
	v_mov_b32_dpp v18, v82 quad_perm:[1,0,3,2] row_mask:0xf bank_mask:0xf// 000000005F20: 7E2402FA FF00B152
	v_perm_b32 v58, v18, v82, v17                              // 000000005F28: D1ED003A 0446A512
	v_mov_b32_dpp v18, v83 quad_perm:[1,0,3,2] row_mask:0xf bank_mask:0xf// 000000005F30: 7E2402FA FF00B153
	v_perm_b32 v59, v18, v83, v17                              // 000000005F38: D1ED003B 0446A712
	v_mov_b32_dpp v18, v84 quad_perm:[1,0,3,2] row_mask:0xf bank_mask:0xf// 000000005F40: 7E2402FA FF00B154
	v_perm_b32 v60, v18, v84, v17                              // 000000005F48: D1ED003C 0446A912
	v_mfma_f32_16x16x16_f16 v[196:199], v[132:133], v[172:173], v[196:199]// 000000005F50: D3CD00C4 07135984
	v_mov_b32_dpp v18, v85 quad_perm:[1,0,3,2] row_mask:0xf bank_mask:0xf// 000000005F58: 7E2402FA FF00B155
	v_perm_b32 v61, v18, v85, v17                              // 000000005F60: D1ED003D 0446AB12
	v_mov_b32_dpp v18, v86 quad_perm:[1,0,3,2] row_mask:0xf bank_mask:0xf// 000000005F68: 7E2402FA FF00B156
	v_perm_b32 v62, v18, v86, v17                              // 000000005F70: D1ED003E 0446AD12
	v_mov_b32_dpp v18, v87 quad_perm:[1,0,3,2] row_mask:0xf bank_mask:0xf// 000000005F78: 7E2402FA FF00B157
	v_perm_b32 v63, v18, v87, v17                              // 000000005F80: D1ED003F 0446AF12
	v_mfma_f32_16x16x16_f16 v[200:203], v[134:135], v[172:173], v[200:203]// 000000005F88: D3CD00C8 07235986
	ds_write_b32 v20, v58 offset:24320                         // 000000005F90: D81A5F00 00003A14
	ds_write_b32 v20, v59 offset:24864                         // 000000005F98: D81A6120 00003B14
	v_mfma_f32_16x16x16_f16 v[204:207], v[136:137], v[172:173], v[204:207]// 000000005FA0: D3CD00CC 07335988
	v_mfma_f32_16x16x16_f16 v[208:211], v[138:139], v[172:173], v[208:211]// 000000005FA8: D3CD00D0 0743598A
	ds_write_b32 v20, v60 offset:26624                         // 000000005FB0: D81A6800 00003C14
	ds_write_b32 v20, v61 offset:27168                         // 000000005FB8: D81A6A20 00003D14
	ds_write_b32 v20, v62 offset:28928                         // 000000005FC0: D81A7100 00003E14
	ds_write_b32 v20, v63 offset:29472                         // 000000005FC8: D81A7320 00003F14
	v_mfma_f32_16x16x16_f16 v[212:215], v[132:133], v[174:175], v[212:215]// 000000005FD0: D3CD00D4 07535D84
	v_mfma_f32_16x16x16_f16 v[216:219], v[134:135], v[174:175], v[216:219]// 000000005FD8: D3CD00D8 07635D86
	ds_write_b32 v15, v100 offset:4352                         // 000000005FE0: D81A1100 0000640F
	ds_write_b32 v15, v101 offset:5408                         // 000000005FE8: D81A1520 0000650F
	v_mfma_f32_16x16x16_f16 v[220:223], v[136:137], v[174:175], v[220:223]// 000000005FF0: D3CD00DC 07735D88
	s_nop 0                                                    // 000000005FF8: BF800000
	s_nop 0                                                    // 000000005FFC: BF800000
	s_nop 0                                                    // 000000006000: BF800000
	v_mfma_f32_16x16x16_f16 v[224:227], v[138:139], v[174:175], v[224:227]// 000000006004: D3CD00E0 07835D8A
	ds_write_b32 v15, v102 offset:6528                         // 00000000600C: D81A1980 0000660F
	ds_write_b32 v15, v103 offset:7584                         // 000000006014: D81A1DA0 0000670F
	s_barrier                                                  // 00000000601C: BF8A0000
	v_mfma_f32_16x16x16_f16 a[112:115], a[96:97], v[76:77], a[112:115]// 000000006020: D3CD8070 0DC29960
	buffer_atomic_pk_add_f16 v156, v7, s[32:35], 0 idxen       // 000000006028: E1382000 80089C07
	v_mfma_f32_16x16x16_f16 a[116:119], a[98:99], v[76:77], a[116:119]// 000000006030: D3CD8074 0DD29962
	ds_read_b32 v140, v23 offset:36096                         // 000000006038: D86C8D00 8C000017
	ds_read_b32 v144, v23 offset:36160                         // 000000006040: D86C8D40 90000017
	ds_read_b32 v176, v23 offset:36352                         // 000000006048: D86C8E00 B0000017
	ds_read_b32 v177, v23 offset:36416                         // 000000006050: D86C8E40 B1000017
	v_mfma_f32_16x16x16_f16 a[120:123], a[100:101], v[76:77], a[120:123]// 000000006058: D3CD8078 0DE29964
	s_waitcnt lgkmcnt(8)                                       // 000000006060: BF8CC87F
	s_barrier                                                  // 000000006064: BF8A0000
	v_mfma_f32_16x16x16_f16 a[124:127], a[102:103], v[76:77], a[124:127]// 000000006068: D3CD807C 0DF29966
	ds_read_b128 v[52:55], v19 offset:17408                    // 000000006070: D9FE4400 34000013
	v_mfma_f32_16x16x16_f16 a[128:131], a[96:97], v[78:79], a[128:131]// 000000006078: D3CD8080 0E029D60
	v_mfma_f32_16x16x16_f16 a[132:135], a[98:99], v[78:79], a[132:135]// 000000006080: D3CD8084 0E129D62
	ds_read_b128 v[56:59], v19 offset:18560                    // 000000006088: D9FE4880 38000013
	v_mfma_f32_16x16x16_f16 a[136:139], a[100:101], v[78:79], a[136:139]// 000000006090: D3CD8088 0E229D64
	buffer_atomic_pk_add_f16 v157, v8, s[32:35], 0 idxen       // 000000006098: E1382000 80089D08
	v_mfma_f32_16x16x16_f16 a[140:143], a[102:103], v[78:79], a[140:143]// 0000000060A0: D3CD808C 0E329D66
	ds_read_b128 v[60:63], v19 offset:19712                    // 0000000060A8: D9FE4D00 3C000013
	v_mfma_f32_16x16x16_f16 a[144:147], a[96:97], v[80:81], a[144:147]// 0000000060B0: D3CD8090 0E42A160
	v_mfma_f32_16x16x16_f16 a[148:151], a[98:99], v[80:81], a[148:151]// 0000000060B8: D3CD8094 0E52A162
	ds_read_b128 v[64:67], v19 offset:20864                    // 0000000060C0: D9FE5180 40000013
	v_mfma_f32_16x16x16_f16 a[152:155], a[100:101], v[80:81], a[152:155]// 0000000060C8: D3CD8098 0E62A164
	v_mfma_f32_16x16x16_f16 a[156:159], a[102:103], v[80:81], a[156:159]// 0000000060D0: D3CD809C 0E72A166
	ds_read_b128 v[68:71], v19 offset:22016                    // 0000000060D8: D9FE5600 44000013
	v_mfma_f32_16x16x16_f16 a[112:115], a[104:105], v[82:83], a[112:115]// 0000000060E0: D3CD8070 0DC2A568
	buffer_atomic_pk_add_f16 v158, v9, s[32:35], 0 idxen       // 0000000060E8: E1382000 80089E09
	v_mfma_f32_16x16x16_f16 a[116:119], a[106:107], v[82:83], a[116:119]// 0000000060F0: D3CD8074 0DD2A56A
	ds_read_b128 v[72:75], v19 offset:23168                    // 0000000060F8: D9FE5A80 48000013
	v_mfma_f32_16x16x16_f16 a[120:123], a[108:109], v[82:83], a[120:123]// 000000006100: D3CD8078 0DE2A56C
	v_mfma_f32_16x16x16_f16 a[124:127], a[110:111], v[82:83], a[124:127]// 000000006108: D3CD807C 0DF2A56E
	ds_write_b32 v15, v104 offset:13056                        // 000000006110: D81A3300 0000680F
	v_mfma_f32_16x16x16_f16 a[128:131], a[104:105], v[84:85], a[128:131]// 000000006118: D3CD8080 0E02A968
	v_mfma_f32_16x16x16_f16 a[132:135], a[106:107], v[84:85], a[132:135]// 000000006120: D3CD8084 0E12A96A
	ds_write_b32 v15, v105 offset:14112                        // 000000006128: D81A3720 0000690F
	v_mfma_f32_16x16x16_f16 a[136:139], a[108:109], v[84:85], a[136:139]// 000000006130: D3CD8088 0E22A96C
	buffer_atomic_pk_add_f16 v159, v10, s[32:35], 0 idxen      // 000000006138: E1382000 80089F0A
	v_mfma_f32_16x16x16_f16 a[140:143], a[110:111], v[84:85], a[140:143]// 000000006140: D3CD808C 0E32A96E
	ds_write_b32 v15, v106 offset:15232                        // 000000006148: D81A3B80 00006A0F
	v_mfma_f32_16x16x16_f16 a[144:147], a[104:105], v[86:87], a[144:147]// 000000006150: D3CD8090 0E42AD68
	v_mfma_f32_16x16x16_f16 a[148:151], a[106:107], v[86:87], a[148:151]// 000000006158: D3CD8094 0E52AD6A
	ds_write_b32 v15, v107 offset:16288                        // 000000006160: D81A3FA0 00006B0F
	v_mfma_f32_16x16x16_f16 a[152:155], a[108:109], v[86:87], a[152:155]// 000000006168: D3CD8098 0E62AD6C
	v_mfma_f32_16x16x16_f16 a[156:159], a[110:111], v[86:87], a[156:159]// 000000006170: D3CD809C 0E72AD6E
	s_waitcnt vmcnt(4) lgkmcnt(4)                              // 000000006178: BF8C0474
	s_barrier                                                  // 00000000617C: BF8A0000
	v_mfma_f32_16x16x16_f16 v[148:151], a[24:25], v[52:53], 0  // 000000006180: D3CD0094 0A026918
	v_mul_f32_e32 v140, s49, v140                              // 000000006188: 0B191831
	v_mul_f32_e32 v144, s49, v144                              // 00000000618C: 0B212031
	s_nop 0                                                    // 000000006190: BF800000
	v_mfma_f32_16x16x16_f16 v[148:151], a[28:29], v[54:55], v[148:151]// 000000006194: D3CD0094 0E526D1C
	ds_read_b128 a[96:99], v12                                 // 00000000619C: DBFE0000 6000000C
	buffer_load_dword v40, v1, s[8:11], 0 idxen                // 0000000061A4: E0502000 80022801
	v_mfma_f32_16x16x16_f16 v[148:151], a[32:33], v[56:57], v[148:151]// 0000000061AC: D3CD0094 0E527120
	v_mfma_f32_16x16x16_f16 v[148:151], a[36:37], v[58:59], v[148:151]// 0000000061B4: D3CD0094 0E527524
	ds_read_b128 a[100:103], v12 offset:512                    // 0000000061BC: DBFE0200 6400000C
	buffer_load_dword v41, v2, s[8:11], 0 idxen                // 0000000061C4: E0502000 80022902
	v_mfma_f32_16x16x16_f16 v[148:151], a[40:41], v[60:61], v[148:151]// 0000000061CC: D3CD0094 0E527928
	v_perm_b32 v100, v37, v36, s63                             // 0000000061D4: D1ED0064 00FE4925
	v_perm_b32 v101, v37, v36, s64                             // 0000000061DC: D1ED0065 01024925
	v_mfma_f32_16x16x16_f16 v[148:151], a[44:45], v[62:63], v[148:151]// 0000000061E4: D3CD0094 0E527D2C
	ds_read_b128 a[104:107], v12 offset:2176                   // 0000000061EC: DBFE0880 6800000C
	buffer_load_dword v42, v3, s[8:11], 0 idxen                // 0000000061F4: E0502000 80022A03
	v_mfma_f32_16x16x16_f16 v[148:151], a[48:49], v[64:65], v[148:151]// 0000000061FC: D3CD0094 0E528130
	v_perm_b32 v102, v39, v38, s63                             // 000000006204: D1ED0066 00FE4D27
	v_perm_b32 v103, v39, v38, s64                             // 00000000620C: D1ED0067 01024D27
	v_mfma_f32_16x16x16_f16 v[148:151], a[52:53], v[66:67], v[148:151]// 000000006214: D3CD0094 0E528534
	ds_read_b128 a[108:111], v12 offset:2688                   // 00000000621C: DBFE0A80 6C00000C
	buffer_load_dword v43, v4, s[8:11], 0 idxen                // 000000006224: E0502000 80022B04
	v_mfma_f32_16x16x16_f16 v[148:151], a[56:57], v[68:69], v[148:151]// 00000000622C: D3CD0094 0E528938
	v_perm_b32 v104, v45, v44, s63                             // 000000006234: D1ED0068 00FE592D
	v_perm_b32 v105, v45, v44, s64                             // 00000000623C: D1ED0069 0102592D
	v_mfma_f32_16x16x16_f16 v[148:151], a[60:61], v[70:71], v[148:151]// 000000006244: D3CD0094 0E528D3C
	ds_read_b128 v[108:111], v12 offset:8704                   // 00000000624C: D9FE2200 6C00000C
	buffer_load_dword v48, v1, s[20:23], 0 idxen               // 000000006254: E0502000 80053001
	v_mfma_f32_16x16x16_f16 v[148:151], a[64:65], v[72:73], v[148:151]// 00000000625C: D3CD0094 0E529140
	v_perm_b32 v106, v47, v46, s63                             // 000000006264: D1ED006A 00FE5D2F
	v_perm_b32 v107, v47, v46, s64                             // 00000000626C: D1ED006B 01025D2F
	v_mfma_f32_16x16x16_f16 v[148:151], a[68:69], v[74:75], v[148:151]// 000000006274: D3CD0094 0E529544
	ds_read_b128 v[112:115], v12 offset:9216                   // 00000000627C: D9FE2400 7000000C
	buffer_load_dword v49, v2, s[20:23], 0 idxen               // 000000006284: E0502000 80053102
	v_mfma_f32_16x16x16_f16 v[152:155], a[26:27], v[52:53], 0  // 00000000628C: D3CD0098 0A02691A
	v_mov_b32_dpp v143, v140 quad_perm:[3,3,3,3] row_mask:0xf bank_mask:0xf// 000000006294: 7F1E02FA FF00FF8C
	v_mov_b32_dpp v142, v140 quad_perm:[2,2,2,2] row_mask:0xf bank_mask:0xf// 00000000629C: 7F1C02FA FF00AA8C
	v_mov_b32_dpp v141, v140 quad_perm:[1,1,1,1] row_mask:0xf bank_mask:0xf// 0000000062A4: 7F1A02FA FF00558C
	v_mov_b32_dpp v140, v140 quad_perm:[0,0,0,0] row_mask:0xf bank_mask:0xf// 0000000062AC: 7F1802FA FF00008C
	v_mfma_f32_16x16x16_f16 v[152:155], a[30:31], v[54:55], v[152:155]// 0000000062B4: D3CD0098 0E626D1E
	ds_read_b128 v[116:119], v12 offset:10880                  // 0000000062BC: D9FE2A80 7400000C
	buffer_load_dword v50, v3, s[20:23], 0 idxen               // 0000000062C4: E0502000 80053203
	v_mfma_f32_16x16x16_f16 v[152:155], a[34:35], v[56:57], v[152:155]// 0000000062CC: D3CD0098 0E627122
	v_mov_b32_dpp v147, v144 quad_perm:[3,3,3,3] row_mask:0xf bank_mask:0xf// 0000000062D4: 7F2602FA FF00FF90
	v_mov_b32_dpp v146, v144 quad_perm:[2,2,2,2] row_mask:0xf bank_mask:0xf// 0000000062DC: 7F2402FA FF00AA90
	v_mov_b32_dpp v145, v144 quad_perm:[1,1,1,1] row_mask:0xf bank_mask:0xf// 0000000062E4: 7F2202FA FF005590
	v_mov_b32_dpp v144, v144 quad_perm:[0,0,0,0] row_mask:0xf bank_mask:0xf// 0000000062EC: 7F2002FA FF000090
	s_add_u32 s60, 0x80, s59                                   // 0000000062F4: 803C3BFF 00000080
	v_mfma_f32_16x16x16_f16 v[152:155], a[38:39], v[58:59], v[152:155]// 0000000062FC: D3CD0098 0E627526
	ds_read_b128 v[120:123], v12 offset:11392                  // 000000006304: D9FE2C80 7800000C
	buffer_load_dword v51, v4, s[20:23], 0 idxen               // 00000000630C: E0502000 80053304
	v_mfma_f32_16x16x16_f16 v[152:155], a[42:43], v[60:61], v[152:155]// 000000006314: D3CD0098 0E62792A
	s_cmp_lt_u32 s60, s58                                      // 00000000631C: BF0A3A3C
	s_cselect_b32 s68, s68, 0                                  // 000000006320: 85448044
	s_cselect_b32 s69, s69, 0                                  // 000000006324: 85458045
	v_mfma_f32_16x16x16_f16 v[152:155], a[46:47], v[62:63], v[152:155]// 000000006328: D3CD0098 0E627D2E
	buffer_load_dword v11, s[24:27], 0 idxen lds               // 000000006330: E0512000 8006000B
	v_mfma_f32_16x16x16_f16 v[152:155], a[50:51], v[64:65], v[152:155]// 000000006338: D3CD0098 0E628132
	s_add_u32 s8, s68, s8                                      // 000000006340: 80080844
	s_addc_u32 s9, 0, s9                                       // 000000006344: 82090980
	v_mfma_f32_16x16x16_f16 v[152:155], a[54:55], v[66:67], v[152:155]// 000000006348: D3CD0098 0E628536
	s_add_u32 s20, s68, s20                                    // 000000006350: 80141444
	s_addc_u32 s21, 0, s21                                     // 000000006354: 82151580
	v_mfma_f32_16x16x16_f16 v[152:155], a[58:59], v[68:69], v[152:155]// 000000006358: D3CD0098 0E62893A
	s_mov_b32 m0, s78                                          // 000000006360: BEFC004E
	v_add_u32_e32 v11, s69, v11                                // 000000006364: 68161645
	v_mfma_f32_16x16x16_f16 v[152:155], a[62:63], v[70:71], v[152:155]// 000000006368: D3CD0098 0E628D3E
	s_cmp_ge_u32 s59, s73                                      // 000000006370: BF09493B
	s_cselect_b32 s66, s67, s66                                // 000000006374: 85424243
	v_mfma_f32_16x16x16_f16 v[152:155], a[66:67], v[72:73], v[152:155]// 000000006378: D3CD0098 0E629142
	s_addk_i32 s59, 0x20                                       // 000000006380: B73B0020
	s_nop 0                                                    // 000000006384: BF800000
	s_cmp_lt_i32 s59, s58                                      // 000000006388: BF043A3B
	v_mfma_f32_16x16x16_f16 v[152:155], a[70:71], v[74:75], v[152:155]// 00000000638C: D3CD0098 0E629546
	s_cbranch_scc0 label_0D16                                  // 000000006394: BF8403B0
	s_waitcnt lgkmcnt(4)                                       // 000000006398: BF8CC47F
	s_barrier                                                  // 00000000639C: BF8A0000
	v_mfma_f32_16x16x16_f16 v[52:55], a[96:97], a[0:1], 0      // 0000000063A0: D3CD0034 1A020160
	ds_write_b32 v13, v44 offset:8704                          // 0000000063A8: D81A2200 00002C0D
	ds_write_b32 v13, v45 offset:9760                          // 0000000063B0: D81A2620 00002D0D
	v_mfma_f32_16x16x16_f16 v[52:55], a[98:99], a[2:3], v[52:55]// 0000000063B8: D3CD0034 1CD20562
	v_mul_f32_e32 v148, s48, v148                              // 0000000063C0: 0B292830
	v_mul_f32_e32 v149, s48, v149                              // 0000000063C4: 0B2B2A30
	v_mfma_f32_16x16x16_f16 v[52:55], a[100:101], a[4:5], v[52:55]// 0000000063C8: D3CD0034 1CD20964
	ds_write_b32 v13, v46 offset:10880                         // 0000000063D0: D81A2A80 00002E0D
	ds_write_b32 v13, v47 offset:11936                         // 0000000063D8: D81A2EA0 00002F0D
	v_mfma_f32_16x16x16_f16 v[52:55], a[102:103], a[6:7], v[52:55]// 0000000063E0: D3CD0034 1CD20D66
	v_mul_f32_e32 v150, s48, v150                              // 0000000063E8: 0B2D2C30
	v_mul_f32_e32 v151, s48, v151                              // 0000000063EC: 0B2F2E30
	v_mfma_f32_16x16x16_f16 v[56:59], a[96:97], a[8:9], 0      // 0000000063F0: D3CD0038 1A021160
	v_mul_f32_e32 v152, s48, v152                              // 0000000063F8: 0B313030
	v_mul_f32_e32 v153, s48, v153                              // 0000000063FC: 0B333230
	v_mfma_f32_16x16x16_f16 v[56:59], a[98:99], a[10:11], v[56:59]// 000000006400: D3CD0038 1CE21562
	v_mul_f32_e32 v154, s48, v154                              // 000000006408: 0B353430
	v_mul_f32_e32 v155, s48, v155                              // 00000000640C: 0B373630
	v_mfma_f32_16x16x16_f16 v[56:59], a[100:101], a[12:13], v[56:59]// 000000006410: D3CD0038 1CE21964
	v_cvt_pkrtz_f16_f32 v148, v148, v149                       // 000000006418: D2960094 00032B94
	v_cvt_pkrtz_f16_f32 v149, v150, v151                       // 000000006420: D2960095 00032F96
	v_mfma_f32_16x16x16_f16 v[56:59], a[102:103], a[14:15], v[56:59]// 000000006428: D3CD0038 1CE21D66
	v_cvt_pkrtz_f16_f32 v150, v152, v153                       // 000000006430: D2960096 00033398
	v_cvt_pkrtz_f16_f32 v151, v154, v155                       // 000000006438: D2960097 0003379A
	v_mfma_f32_16x16x16_f16 v[60:63], a[96:97], a[16:17], 0    // 000000006440: D3CD003C 1A022160
	ds_write_b64 v22, v[148:149] offset:31232                  // 000000006448: D89A7A00 00009416
	v_mfma_f32_16x16x16_f16 v[60:63], a[98:99], a[18:19], v[60:63]// 000000006450: D3CD003C 1CF22562
	v_mfma_f32_16x16x16_f16 v[60:63], a[100:101], a[20:21], v[60:63]// 000000006458: D3CD003C 1CF22964
	ds_write_b64 v22, v[150:151] offset:31776                  // 000000006460: D89A7C20 00009616
	v_mfma_f32_16x16x16_f16 v[60:63], a[102:103], a[22:23], v[60:63]// 000000006468: D3CD003C 1CF22D66
	v_mfma_f32_16x16x16_f16 v[64:67], a[104:105], a[0:1], 0    // 000000006470: D3CD0040 1A020168
	ds_read_b128 v[124:127], v14 offset:13056                  // 000000006478: D9FE3300 7C00000E
	ds_write_b32 v13, v36                                      // 000000006480: D81A0000 0000240D
	v_mfma_f32_16x16x16_f16 v[64:67], a[106:107], a[2:3], v[64:67]// 000000006488: D3CD0040 1D02056A
	v_mfma_f32_16x16x16_f16 v[64:67], a[108:109], a[4:5], v[64:67]// 000000006490: D3CD0040 1D02096C
	v_mfma_f32_16x16x16_f16 v[64:67], a[110:111], a[6:7], v[64:67]// 000000006498: D3CD0040 1D020D6E
	ds_read_b128 v[128:131], v14 offset:13568                  // 0000000064A0: D9FE3500 8000000E
	ds_write_b32 v13, v37 offset:1056                          // 0000000064A8: D81A0420 0000250D
	v_mfma_f32_16x16x16_f16 v[68:71], a[104:105], a[8:9], 0    // 0000000064B0: D3CD0044 1A021168
	v_mfma_f32_16x16x16_f16 v[68:71], a[106:107], a[10:11], v[68:71]// 0000000064B8: D3CD0044 1D12156A
	v_mfma_f32_16x16x16_f16 v[68:71], a[108:109], a[12:13], v[68:71]// 0000000064C0: D3CD0044 1D12196C
	ds_read_b128 v[132:135], v14 offset:15232                  // 0000000064C8: D9FE3B80 8400000E
	ds_write_b32 v13, v38 offset:2176                          // 0000000064D0: D81A0880 0000260D
	v_mfma_f32_16x16x16_f16 v[68:71], a[110:111], a[14:15], v[68:71]// 0000000064D8: D3CD0044 1D121D6E
	v_mfma_f32_16x16x16_f16 v[72:75], a[104:105], a[16:17], 0  // 0000000064E0: D3CD0048 1A022168
	v_mfma_f32_16x16x16_f16 v[72:75], a[106:107], a[18:19], v[72:75]// 0000000064E8: D3CD0048 1D22256A
	ds_read_b128 v[136:139], v14 offset:15744                  // 0000000064F0: D9FE3D80 8800000E
	ds_write_b32 v13, v39 offset:3232                          // 0000000064F8: D81A0CA0 0000270D
	v_mfma_f32_16x16x16_f16 v[72:75], a[108:109], a[20:21], v[72:75]// 000000006500: D3CD0048 1D22296C
	v_mfma_f32_16x16x16_f16 v[72:75], a[110:111], a[22:23], v[72:75]// 000000006508: D3CD0048 1D222D6E
	s_cmp_lt_i32 s74, 12                                       // 000000006510: BF048C4A
	s_cbranch_scc0 label_0AAC                                  // 000000006514: BF8400E6
	s_mov_b32 s60, 0xffe0fffe                                  // 000000006518: BEBC00FF FFE0FFFE
	s_mov_b32 s61, 0xe000fe00                                  // 000000006520: BEBD00FF E000FE00
	s_nop 0                                                    // 000000006528: BF800000
	s_add_u32 s62, 0, s47                                      // 00000000652C: 803E2F80
	s_cmp_lt_i32 s74, s62                                      // 000000006530: BF043E4A
	s_cbranch_scc1 label_09F6                                  // 000000006534: BF850028
	s_cmp_eq_i32 s74, s62                                      // 000000006538: BF003E4A
	s_cbranch_scc1 label_09DB                                  // 00000000653C: BF85000B
	s_add_u32 s62, 4, s47                                      // 000000006540: 803E2F84
	s_cmp_lt_i32 s74, s62                                      // 000000006544: BF043E4A
	s_cbranch_scc1 label_0A16                                  // 000000006548: BF850043
	s_cmp_eq_i32 s74, s62                                      // 00000000654C: BF003E4A
	s_cbranch_scc1 label_09FB                                  // 000000006550: BF850026
	s_add_u32 s62, 8, s47                                      // 000000006554: 803E2F88
	s_cmp_lt_i32 s74, s62                                      // 000000006558: BF043E4A
	s_cbranch_scc1 label_0A36                                  // 00000000655C: BF85005E
	s_cmp_eq_i32 s74, s62                                      // 000000006560: BF003E4A
	s_cbranch_scc1 label_0A1B                                  // 000000006564: BF850041
	s_branch label_0A3B                                        // 000000006568: BF820060

000000000000656c <label_09DB>:
	v_cndmask_b32_e64 v52, v52, v178, s[60:61]                 // 00000000656C: D1000034 00F36534
	s_lshl_b32 s60, s60, 1                                     // 000000006574: 8E3C813C
	s_lshl_b32 s61, s61, 1                                     // 000000006578: 8E3D813D
	s_and_b32 s60, 0xfffeffff, s60                             // 00000000657C: 863C3CFF FFFEFFFF
	s_and_b32 s61, 0xfffeffff, s61                             // 000000006584: 863D3DFF FFFEFFFF
	v_cndmask_b32_e64 v53, v53, v178, s[60:61]                 // 00000000658C: D1000035 00F36535
	s_lshl_b32 s60, s60, 1                                     // 000000006594: 8E3C813C
	s_lshl_b32 s61, s61, 1                                     // 000000006598: 8E3D813D
	s_and_b32 s60, 0xfffeffff, s60                             // 00000000659C: 863C3CFF FFFEFFFF
	s_and_b32 s61, 0xfffeffff, s61                             // 0000000065A4: 863D3DFF FFFEFFFF
	v_cndmask_b32_e64 v54, v54, v178, s[60:61]                 // 0000000065AC: D1000036 00F36536
	s_lshl_b32 s60, s60, 1                                     // 0000000065B4: 8E3C813C
	s_lshl_b32 s61, s61, 1                                     // 0000000065B8: 8E3D813D
	s_and_b32 s60, 0xfffeffff, s60                             // 0000000065BC: 863C3CFF FFFEFFFF
	s_and_b32 s61, 0xfffeffff, s61                             // 0000000065C4: 863D3DFF FFFEFFFF
	v_cndmask_b32_e64 v55, v55, v178, s[60:61]                 // 0000000065CC: D1000037 00F36537
	s_branch label_0A16                                        // 0000000065D4: BF820020

00000000000065d8 <label_09F6>:
	v_mov_b32_e32 v52, v178                                    // 0000000065D8: 7E6803B2
	v_mov_b32_e32 v53, v178                                    // 0000000065DC: 7E6A03B2
	v_mov_b32_e32 v54, v178                                    // 0000000065E0: 7E6C03B2
	v_mov_b32_e32 v55, v178                                    // 0000000065E4: 7E6E03B2
	s_branch label_0A16                                        // 0000000065E8: BF82001B

00000000000065ec <label_09FB>:
	v_cndmask_b32_e64 v56, v56, v178, s[60:61]                 // 0000000065EC: D1000038 00F36538
	s_lshl_b32 s60, s60, 1                                     // 0000000065F4: 8E3C813C
	s_lshl_b32 s61, s61, 1                                     // 0000000065F8: 8E3D813D
	s_and_b32 s60, 0xfffeffff, s60                             // 0000000065FC: 863C3CFF FFFEFFFF
	s_and_b32 s61, 0xfffeffff, s61                             // 000000006604: 863D3DFF FFFEFFFF
	v_cndmask_b32_e64 v57, v57, v178, s[60:61]                 // 00000000660C: D1000039 00F36539
	s_lshl_b32 s60, s60, 1                                     // 000000006614: 8E3C813C
	s_lshl_b32 s61, s61, 1                                     // 000000006618: 8E3D813D
	s_and_b32 s60, 0xfffeffff, s60                             // 00000000661C: 863C3CFF FFFEFFFF
	s_and_b32 s61, 0xfffeffff, s61                             // 000000006624: 863D3DFF FFFEFFFF
	v_cndmask_b32_e64 v58, v58, v178, s[60:61]                 // 00000000662C: D100003A 00F3653A
	s_lshl_b32 s60, s60, 1                                     // 000000006634: 8E3C813C
	s_lshl_b32 s61, s61, 1                                     // 000000006638: 8E3D813D
	s_and_b32 s60, 0xfffeffff, s60                             // 00000000663C: 863C3CFF FFFEFFFF
	s_and_b32 s61, 0xfffeffff, s61                             // 000000006644: 863D3DFF FFFEFFFF
	v_cndmask_b32_e64 v59, v59, v178, s[60:61]                 // 00000000664C: D100003B 00F3653B
	s_branch label_0A36                                        // 000000006654: BF820020

0000000000006658 <label_0A16>:
	v_mov_b32_e32 v56, v178                                    // 000000006658: 7E7003B2
	v_mov_b32_e32 v57, v178                                    // 00000000665C: 7E7203B2
	v_mov_b32_e32 v58, v178                                    // 000000006660: 7E7403B2
	v_mov_b32_e32 v59, v178                                    // 000000006664: 7E7603B2
	s_branch label_0A36                                        // 000000006668: BF82001B

000000000000666c <label_0A1B>:
	v_cndmask_b32_e64 v60, v60, v178, s[60:61]                 // 00000000666C: D100003C 00F3653C
	s_lshl_b32 s60, s60, 1                                     // 000000006674: 8E3C813C
	s_lshl_b32 s61, s61, 1                                     // 000000006678: 8E3D813D
	s_and_b32 s60, 0xfffeffff, s60                             // 00000000667C: 863C3CFF FFFEFFFF
	s_and_b32 s61, 0xfffeffff, s61                             // 000000006684: 863D3DFF FFFEFFFF
	v_cndmask_b32_e64 v61, v61, v178, s[60:61]                 // 00000000668C: D100003D 00F3653D
	s_lshl_b32 s60, s60, 1                                     // 000000006694: 8E3C813C
	s_lshl_b32 s61, s61, 1                                     // 000000006698: 8E3D813D
	s_and_b32 s60, 0xfffeffff, s60                             // 00000000669C: 863C3CFF FFFEFFFF
	s_and_b32 s61, 0xfffeffff, s61                             // 0000000066A4: 863D3DFF FFFEFFFF
	v_cndmask_b32_e64 v62, v62, v178, s[60:61]                 // 0000000066AC: D100003E 00F3653E
	s_lshl_b32 s60, s60, 1                                     // 0000000066B4: 8E3C813C
	s_lshl_b32 s61, s61, 1                                     // 0000000066B8: 8E3D813D
	s_and_b32 s60, 0xfffeffff, s60                             // 0000000066BC: 863C3CFF FFFEFFFF
	s_and_b32 s61, 0xfffeffff, s61                             // 0000000066C4: 863D3DFF FFFEFFFF
	v_cndmask_b32_e64 v63, v63, v178, s[60:61]                 // 0000000066CC: D100003F 00F3653F
	s_branch label_0A3B                                        // 0000000066D4: BF820005

00000000000066d8 <label_0A36>:
	v_mov_b32_e32 v60, v178                                    // 0000000066D8: 7E7803B2
	v_mov_b32_e32 v61, v178                                    // 0000000066DC: 7E7A03B2
	v_mov_b32_e32 v62, v178                                    // 0000000066E0: 7E7C03B2
	v_mov_b32_e32 v63, v178                                    // 0000000066E4: 7E7E03B2
	s_branch label_0A3B                                        // 0000000066E8: BF820000

00000000000066ec <label_0A3B>:
	s_addk_i32 s74, 0x1                                        // 0000000066EC: B74A0001
	s_add_u32 s62, 0, s47                                      // 0000000066F0: 803E2F80
	s_cmp_lt_i32 s74, s62                                      // 0000000066F4: BF043E4A
	s_cbranch_scc1 label_0A67                                  // 0000000066F8: BF850028
	s_cmp_eq_i32 s74, s62                                      // 0000000066FC: BF003E4A
	s_cbranch_scc1 label_0A4C                                  // 000000006700: BF85000B
	s_add_u32 s62, 4, s47                                      // 000000006704: 803E2F84
	s_cmp_lt_i32 s74, s62                                      // 000000006708: BF043E4A
	s_cbranch_scc1 label_0A87                                  // 00000000670C: BF850043
	s_cmp_eq_i32 s74, s62                                      // 000000006710: BF003E4A
	s_cbranch_scc1 label_0A6C                                  // 000000006714: BF850026
	s_add_u32 s62, 8, s47                                      // 000000006718: 803E2F88
	s_cmp_lt_i32 s74, s62                                      // 00000000671C: BF043E4A
	s_cbranch_scc1 label_0AA7                                  // 000000006720: BF85005E
	s_cmp_eq_i32 s74, s62                                      // 000000006724: BF003E4A
	s_cbranch_scc1 label_0A8C                                  // 000000006728: BF850041
	s_branch label_0AAC                                        // 00000000672C: BF820060

0000000000006730 <label_0A4C>:
	v_cndmask_b32_e64 v64, v64, v178, s[60:61]                 // 000000006730: D1000040 00F36540
	s_lshl_b32 s60, s60, 1                                     // 000000006738: 8E3C813C
	s_lshl_b32 s61, s61, 1                                     // 00000000673C: 8E3D813D
	s_and_b32 s60, 0xfffeffff, s60                             // 000000006740: 863C3CFF FFFEFFFF
	s_and_b32 s61, 0xfffeffff, s61                             // 000000006748: 863D3DFF FFFEFFFF
	v_cndmask_b32_e64 v65, v65, v178, s[60:61]                 // 000000006750: D1000041 00F36541
	s_lshl_b32 s60, s60, 1                                     // 000000006758: 8E3C813C
	s_lshl_b32 s61, s61, 1                                     // 00000000675C: 8E3D813D
	s_and_b32 s60, 0xfffeffff, s60                             // 000000006760: 863C3CFF FFFEFFFF
	s_and_b32 s61, 0xfffeffff, s61                             // 000000006768: 863D3DFF FFFEFFFF
	v_cndmask_b32_e64 v66, v66, v178, s[60:61]                 // 000000006770: D1000042 00F36542
	s_lshl_b32 s60, s60, 1                                     // 000000006778: 8E3C813C
	s_lshl_b32 s61, s61, 1                                     // 00000000677C: 8E3D813D
	s_and_b32 s60, 0xfffeffff, s60                             // 000000006780: 863C3CFF FFFEFFFF
	s_and_b32 s61, 0xfffeffff, s61                             // 000000006788: 863D3DFF FFFEFFFF
	v_cndmask_b32_e64 v67, v67, v178, s[60:61]                 // 000000006790: D1000043 00F36543
	s_branch label_0A87                                        // 000000006798: BF820020

000000000000679c <label_0A67>:
	v_mov_b32_e32 v64, v178                                    // 00000000679C: 7E8003B2
	v_mov_b32_e32 v65, v178                                    // 0000000067A0: 7E8203B2
	v_mov_b32_e32 v66, v178                                    // 0000000067A4: 7E8403B2
	v_mov_b32_e32 v67, v178                                    // 0000000067A8: 7E8603B2
	s_branch label_0A87                                        // 0000000067AC: BF82001B

00000000000067b0 <label_0A6C>:
	v_cndmask_b32_e64 v68, v68, v178, s[60:61]                 // 0000000067B0: D1000044 00F36544
	s_lshl_b32 s60, s60, 1                                     // 0000000067B8: 8E3C813C
	s_lshl_b32 s61, s61, 1                                     // 0000000067BC: 8E3D813D
	s_and_b32 s60, 0xfffeffff, s60                             // 0000000067C0: 863C3CFF FFFEFFFF
	s_and_b32 s61, 0xfffeffff, s61                             // 0000000067C8: 863D3DFF FFFEFFFF
	v_cndmask_b32_e64 v69, v69, v178, s[60:61]                 // 0000000067D0: D1000045 00F36545
	s_lshl_b32 s60, s60, 1                                     // 0000000067D8: 8E3C813C
	s_lshl_b32 s61, s61, 1                                     // 0000000067DC: 8E3D813D
	s_and_b32 s60, 0xfffeffff, s60                             // 0000000067E0: 863C3CFF FFFEFFFF
	s_and_b32 s61, 0xfffeffff, s61                             // 0000000067E8: 863D3DFF FFFEFFFF
	v_cndmask_b32_e64 v70, v70, v178, s[60:61]                 // 0000000067F0: D1000046 00F36546
	s_lshl_b32 s60, s60, 1                                     // 0000000067F8: 8E3C813C
	s_lshl_b32 s61, s61, 1                                     // 0000000067FC: 8E3D813D
	s_and_b32 s60, 0xfffeffff, s60                             // 000000006800: 863C3CFF FFFEFFFF
	s_and_b32 s61, 0xfffeffff, s61                             // 000000006808: 863D3DFF FFFEFFFF
	v_cndmask_b32_e64 v71, v71, v178, s[60:61]                 // 000000006810: D1000047 00F36547
	s_branch label_0AA7                                        // 000000006818: BF820020

000000000000681c <label_0A87>:
	v_mov_b32_e32 v68, v178                                    // 00000000681C: 7E8803B2
	v_mov_b32_e32 v69, v178                                    // 000000006820: 7E8A03B2
	v_mov_b32_e32 v70, v178                                    // 000000006824: 7E8C03B2
	v_mov_b32_e32 v71, v178                                    // 000000006828: 7E8E03B2
	s_branch label_0AA7                                        // 00000000682C: BF82001B

0000000000006830 <label_0A8C>:
	v_cndmask_b32_e64 v72, v72, v178, s[60:61]                 // 000000006830: D1000048 00F36548
	s_lshl_b32 s60, s60, 1                                     // 000000006838: 8E3C813C
	s_lshl_b32 s61, s61, 1                                     // 00000000683C: 8E3D813D
	s_and_b32 s60, 0xfffeffff, s60                             // 000000006840: 863C3CFF FFFEFFFF
	s_and_b32 s61, 0xfffeffff, s61                             // 000000006848: 863D3DFF FFFEFFFF
	v_cndmask_b32_e64 v73, v73, v178, s[60:61]                 // 000000006850: D1000049 00F36549
	s_lshl_b32 s60, s60, 1                                     // 000000006858: 8E3C813C
	s_lshl_b32 s61, s61, 1                                     // 00000000685C: 8E3D813D
	s_and_b32 s60, 0xfffeffff, s60                             // 000000006860: 863C3CFF FFFEFFFF
	s_and_b32 s61, 0xfffeffff, s61                             // 000000006868: 863D3DFF FFFEFFFF
	v_cndmask_b32_e64 v74, v74, v178, s[60:61]                 // 000000006870: D100004A 00F3654A
	s_lshl_b32 s60, s60, 1                                     // 000000006878: 8E3C813C
	s_lshl_b32 s61, s61, 1                                     // 00000000687C: 8E3D813D
	s_and_b32 s60, 0xfffeffff, s60                             // 000000006880: 863C3CFF FFFEFFFF
	s_and_b32 s61, 0xfffeffff, s61                             // 000000006888: 863D3DFF FFFEFFFF
	v_cndmask_b32_e64 v75, v75, v178, s[60:61]                 // 000000006890: D100004B 00F3654B
	s_branch label_0AAC                                        // 000000006898: BF820005

000000000000689c <label_0AA7>:
	v_mov_b32_e32 v72, v178                                    // 00000000689C: 7E9003B2
	v_mov_b32_e32 v73, v178                                    // 0000000068A0: 7E9203B2
	v_mov_b32_e32 v74, v178                                    // 0000000068A4: 7E9403B2
	v_mov_b32_e32 v75, v178                                    // 0000000068A8: 7E9603B2
	s_branch label_0AAC                                        // 0000000068AC: BF820000

00000000000068b0 <label_0AAC>:
	s_addk_i32 s74, 0x1                                        // 0000000068B0: B74A0001
	s_waitcnt lgkmcnt(8)                                       // 0000000068B4: BF8CC87F
	s_barrier                                                  // 0000000068B8: BF8A0000
	v_mfma_f32_16x16x16_f16 v[76:79], v[108:109], a[72:73], 0  // 0000000068BC: D3CD004C 1202916C
	ds_read_b128 a[96:99], v14 offset:4352                     // 0000000068C4: DBFE1100 6000000E
	ds_read_b128 a[100:103], v14 offset:4864                   // 0000000068CC: DBFE1300 6400000E
	v_mfma_f32_16x16x16_f16 v[76:79], v[110:111], a[74:75], v[76:79]// 0000000068D4: D3CD004C 1532956E
	v_fma_f32 v52, v52, s57, -v140                             // 0000000068DC: D1CB0034 86307334
	v_fma_f32 v53, v53, s57, -v141                             // 0000000068E4: D1CB0035 86347335
	v_fma_f32 v54, v54, s57, -v142                             // 0000000068EC: D1CB0036 86387336
	v_fma_f32 v55, v55, s57, -v143                             // 0000000068F4: D1CB0037 863C7337
	v_fma_f32 v56, v56, s57, -v140                             // 0000000068FC: D1CB0038 86307338
	v_fma_f32 v57, v57, s57, -v141                             // 000000006904: D1CB0039 86347339
	v_mfma_f32_16x16x16_f16 v[76:79], v[112:113], a[76:77], v[76:79]// 00000000690C: D3CD004C 15329970
	v_fma_f32 v58, v58, s57, -v142                             // 000000006914: D1CB003A 8638733A
	v_fma_f32 v59, v59, s57, -v143                             // 00000000691C: D1CB003B 863C733B
	v_fma_f32 v60, v60, s57, -v140                             // 000000006924: D1CB003C 8630733C
	v_fma_f32 v61, v61, s57, -v141                             // 00000000692C: D1CB003D 8634733D
	v_fma_f32 v62, v62, s57, -v142                             // 000000006934: D1CB003E 8638733E
	v_fma_f32 v63, v63, s57, -v143                             // 00000000693C: D1CB003F 863C733F
	v_mfma_f32_16x16x16_f16 v[76:79], v[114:115], a[78:79], v[76:79]// 000000006944: D3CD004C 15329D72
	v_fma_f32 v64, v64, s57, -v144                             // 00000000694C: D1CB0040 86407340
	v_fma_f32 v65, v65, s57, -v145                             // 000000006954: D1CB0041 86447341
	v_fma_f32 v66, v66, s57, -v146                             // 00000000695C: D1CB0042 86487342
	v_fma_f32 v67, v67, s57, -v147                             // 000000006964: D1CB0043 864C7343
	v_fma_f32 v68, v68, s57, -v144                             // 00000000696C: D1CB0044 86407344
	v_fma_f32 v69, v69, s57, -v145                             // 000000006974: D1CB0045 86447345
	v_mfma_f32_16x16x16_f16 v[80:83], v[108:109], a[80:81], 0  // 00000000697C: D3CD0050 1202A16C
	ds_read_b128 a[104:107], v14 offset:6528                   // 000000006984: DBFE1980 6800000E
	ds_read_b128 a[108:111], v14 offset:7040                   // 00000000698C: DBFE1B80 6C00000E
	v_mfma_f32_16x16x16_f16 v[80:83], v[110:111], a[82:83], v[80:83]// 000000006994: D3CD0050 1542A56E
	v_fma_f32 v70, v70, s57, -v146                             // 00000000699C: D1CB0046 86487346
	v_fma_f32 v71, v71, s57, -v147                             // 0000000069A4: D1CB0047 864C7347
	v_fma_f32 v72, v72, s57, -v144                             // 0000000069AC: D1CB0048 86407348
	v_fma_f32 v73, v73, s57, -v145                             // 0000000069B4: D1CB0049 86447349
	v_fma_f32 v74, v74, s57, -v146                             // 0000000069BC: D1CB004A 8648734A
	v_fma_f32 v75, v75, s57, -v147                             // 0000000069C4: D1CB004B 864C734B
	v_mfma_f32_16x16x16_f16 v[80:83], v[112:113], a[84:85], v[80:83]// 0000000069CC: D3CD0050 1542A970
	v_exp_f32_e32 v52, v52                                     // 0000000069D4: 7E684134
	v_exp_f32_e32 v53, v53                                     // 0000000069D8: 7E6A4135
	v_mfma_f32_16x16x16_f16 v[80:83], v[114:115], a[86:87], v[80:83]// 0000000069DC: D3CD0050 1542AD72
	v_exp_f32_e32 v54, v54                                     // 0000000069E4: 7E6C4136
	v_exp_f32_e32 v55, v55                                     // 0000000069E8: 7E6E4137
	v_mfma_f32_16x16x16_f16 v[84:87], v[108:109], a[88:89], 0  // 0000000069EC: D3CD0054 1202B16C
	ds_read_b32 v156, v21 offset:31232                         // 0000000069F4: D86C7A00 9C000015
	ds_read_b32 v157, v21 offset:31248                         // 0000000069FC: D86C7A10 9D000015
	v_mfma_f32_16x16x16_f16 v[84:87], v[110:111], a[90:91], v[84:87]// 000000006A04: D3CD0054 1552B56E
	v_exp_f32_e32 v56, v56                                     // 000000006A0C: 7E704138
	v_exp_f32_e32 v57, v57                                     // 000000006A10: 7E724139
	v_mfma_f32_16x16x16_f16 v[84:87], v[112:113], a[92:93], v[84:87]// 000000006A14: D3CD0054 1552B970
	ds_read_b32 v158, v21 offset:31264                         // 000000006A1C: D86C7A20 9E000015
	ds_read_b32 v159, v21 offset:31280                         // 000000006A24: D86C7A30 9F000015
	v_mfma_f32_16x16x16_f16 v[84:87], v[114:115], a[94:95], v[84:87]// 000000006A2C: D3CD0054 1552BD72
	v_exp_f32_e32 v58, v58                                     // 000000006A34: 7E74413A
	v_exp_f32_e32 v59, v59                                     // 000000006A38: 7E76413B
	v_mfma_f32_16x16x16_f16 v[88:91], v[116:117], a[72:73], 0  // 000000006A3C: D3CD0058 12029174
	v_exp_f32_e32 v60, v60                                     // 000000006A44: 7E78413C
	v_exp_f32_e32 v61, v61                                     // 000000006A48: 7E7A413D
	v_mfma_f32_16x16x16_f16 v[88:91], v[118:119], a[74:75], v[88:91]// 000000006A4C: D3CD0058 15629576
	v_exp_f32_e32 v62, v62                                     // 000000006A54: 7E7C413E
	v_exp_f32_e32 v63, v63                                     // 000000006A58: 7E7E413F
	v_mfma_f32_16x16x16_f16 v[88:91], v[120:121], a[76:77], v[88:91]// 000000006A5C: D3CD0058 15629978
	v_exp_f32_e32 v64, v64                                     // 000000006A64: 7E804140
	v_exp_f32_e32 v65, v65                                     // 000000006A68: 7E824141
	v_mfma_f32_16x16x16_f16 v[88:91], v[122:123], a[78:79], v[88:91]// 000000006A6C: D3CD0058 15629D7A
	v_exp_f32_e32 v66, v66                                     // 000000006A74: 7E844142
	v_exp_f32_e32 v67, v67                                     // 000000006A78: 7E864143
	v_mfma_f32_16x16x16_f16 v[92:95], v[116:117], a[80:81], 0  // 000000006A7C: D3CD005C 1202A174
	v_exp_f32_e32 v68, v68                                     // 000000006A84: 7E884144
	v_exp_f32_e32 v69, v69                                     // 000000006A88: 7E8A4145
	v_mfma_f32_16x16x16_f16 v[92:95], v[118:119], a[82:83], v[92:95]// 000000006A8C: D3CD005C 1572A576
	v_exp_f32_e32 v70, v70                                     // 000000006A94: 7E8C4146
	v_exp_f32_e32 v71, v71                                     // 000000006A98: 7E8E4147
	v_mfma_f32_16x16x16_f16 v[92:95], v[120:121], a[84:85], v[92:95]// 000000006A9C: D3CD005C 1572A978
	v_exp_f32_e32 v72, v72                                     // 000000006AA4: 7E904148
	v_exp_f32_e32 v73, v73                                     // 000000006AA8: 7E924149
	v_mfma_f32_16x16x16_f16 v[92:95], v[122:123], a[86:87], v[92:95]// 000000006AAC: D3CD005C 1572AD7A
	v_exp_f32_e32 v74, v74                                     // 000000006AB4: 7E94414A
	v_exp_f32_e32 v75, v75                                     // 000000006AB8: 7E96414B
	v_mfma_f32_16x16x16_f16 v[96:99], v[116:117], a[88:89], 0  // 000000006ABC: D3CD0060 1202B174
	v_cvt_pkrtz_f16_f32 v164, v52, v53                         // 000000006AC4: D29600A4 00026B34
	v_cvt_pkrtz_f16_f32 v165, v54, v55                         // 000000006ACC: D29600A5 00026F36
	v_cvt_pkrtz_f16_f32 v166, v56, v57                         // 000000006AD4: D29600A6 00027338
	v_cvt_pkrtz_f16_f32 v167, v58, v59                         // 000000006ADC: D29600A7 0002773A
	v_cvt_pkrtz_f16_f32 v168, v60, v61                         // 000000006AE4: D29600A8 00027B3C
	v_cvt_pkrtz_f16_f32 v169, v62, v63                         // 000000006AEC: D29600A9 00027F3E
	v_mfma_f32_16x16x16_f16 v[96:99], v[118:119], a[90:91], v[96:99]// 000000006AF4: D3CD0060 1582B576
	v_cvt_pkrtz_f16_f32 v170, v64, v65                         // 000000006AFC: D29600AA 00028340
	v_cvt_pkrtz_f16_f32 v171, v66, v67                         // 000000006B04: D29600AB 00028742
	v_cvt_pkrtz_f16_f32 v172, v68, v69                         // 000000006B0C: D29600AC 00028B44
	v_cvt_pkrtz_f16_f32 v173, v70, v71                         // 000000006B14: D29600AD 00028F46
	v_cvt_pkrtz_f16_f32 v174, v72, v73                         // 000000006B1C: D29600AE 00029348
	v_cvt_pkrtz_f16_f32 v175, v74, v75                         // 000000006B24: D29600AF 0002974A
	v_mfma_f32_16x16x16_f16 v[96:99], v[120:121], a[92:93], v[96:99]// 000000006B2C: D3CD0060 1582B978
	s_add_u32 s32, s66, s32                                    // 000000006B34: 80202042
	s_addc_u32 s33, 0, s33                                     // 000000006B38: 82212180
	v_mfma_f32_16x16x16_f16 v[96:99], v[122:123], a[94:95], v[96:99]// 000000006B3C: D3CD0060 1582BD7A
	s_waitcnt lgkmcnt(0)                                       // 000000006B44: BF8CC07F
	s_barrier                                                  // 000000006B48: BF8A0000
	v_mfma_f32_16x16x16_f16 v[180:183], v[124:125], v[164:165], v[180:183]// 000000006B4C: D3CD00B4 06D3497C
	v_subrev_f32_dpp v76, v176, v76 quad_perm:[0,0,0,0] row_mask:0xf bank_mask:0xf// 000000006B54: 069898FA FF0000B0
	v_subrev_f32_dpp v77, v176, v77 quad_perm:[1,1,1,1] row_mask:0xf bank_mask:0xf// 000000006B5C: 069A9AFA FF0055B0
	v_subrev_f32_dpp v78, v176, v78 quad_perm:[2,2,2,2] row_mask:0xf bank_mask:0xf// 000000006B64: 069C9CFA FF00AAB0
	v_subrev_f32_dpp v79, v176, v79 quad_perm:[3,3,3,3] row_mask:0xf bank_mask:0xf// 000000006B6C: 069E9EFA FF00FFB0
	v_subrev_f32_dpp v80, v176, v80 quad_perm:[0,0,0,0] row_mask:0xf bank_mask:0xf// 000000006B74: 06A0A0FA FF0000B0
	v_subrev_f32_dpp v81, v176, v81 quad_perm:[1,1,1,1] row_mask:0xf bank_mask:0xf// 000000006B7C: 06A2A2FA FF0055B0
	v_mfma_f32_16x16x16_f16 v[184:187], v[126:127], v[164:165], v[184:187]// 000000006B84: D3CD00B8 06E3497E
	v_subrev_f32_dpp v82, v176, v82 quad_perm:[2,2,2,2] row_mask:0xf bank_mask:0xf// 000000006B8C: 06A4A4FA FF00AAB0
	v_subrev_f32_dpp v83, v176, v83 quad_perm:[3,3,3,3] row_mask:0xf bank_mask:0xf// 000000006B94: 06A6A6FA FF00FFB0
	v_subrev_f32_dpp v84, v176, v84 quad_perm:[0,0,0,0] row_mask:0xf bank_mask:0xf// 000000006B9C: 06A8A8FA FF0000B0
	v_subrev_f32_dpp v85, v176, v85 quad_perm:[1,1,1,1] row_mask:0xf bank_mask:0xf// 000000006BA4: 06AAAAFA FF0055B0
	v_subrev_f32_dpp v86, v176, v86 quad_perm:[2,2,2,2] row_mask:0xf bank_mask:0xf// 000000006BAC: 06ACACFA FF00AAB0
	v_subrev_f32_dpp v87, v176, v87 quad_perm:[3,3,3,3] row_mask:0xf bank_mask:0xf// 000000006BB4: 06AEAEFA FF00FFB0
	v_mfma_f32_16x16x16_f16 v[188:191], v[128:129], v[164:165], v[188:191]// 000000006BBC: D3CD00BC 06F34980
	v_mul_f32_e32 v76, v52, v76                                // 000000006BC4: 0A989934
	v_mul_f32_e32 v77, v53, v77                                // 000000006BC8: 0A9A9B35
	v_mul_f32_e32 v78, v54, v78                                // 000000006BCC: 0A9C9D36
	v_mul_f32_e32 v79, v55, v79                                // 000000006BD0: 0A9E9F37
	v_mul_f32_e32 v80, v56, v80                                // 000000006BD4: 0AA0A138
	v_mul_f32_e32 v81, v57, v81                                // 000000006BD8: 0AA2A339
	v_mfma_f32_16x16x16_f16 v[192:195], v[130:131], v[164:165], v[192:195]// 000000006BDC: D3CD00C0 07034982
	v_mul_f32_e32 v82, v58, v82                                // 000000006BE4: 0AA4A53A
	v_mul_f32_e32 v83, v59, v83                                // 000000006BE8: 0AA6A73B
	v_mul_f32_e32 v84, v60, v84                                // 000000006BEC: 0AA8A93C
	v_mul_f32_e32 v85, v61, v85                                // 000000006BF0: 0AAAAB3D
	v_mul_f32_e32 v86, v62, v86                                // 000000006BF4: 0AACAD3E
	v_mul_f32_e32 v87, v63, v87                                // 000000006BF8: 0AAEAF3F
	v_mfma_f32_16x16x16_f16 v[196:199], v[124:125], v[166:167], v[196:199]// 000000006BFC: D3CD00C4 07134D7C
	v_cvt_pkrtz_f16_f32 v76, v76, v77                          // 000000006C04: D296004C 00029B4C
	v_cvt_pkrtz_f16_f32 v77, v78, v79                          // 000000006C0C: D296004D 00029F4E
	v_cvt_pkrtz_f16_f32 v78, v80, v81                          // 000000006C14: D296004E 0002A350
	v_cvt_pkrtz_f16_f32 v79, v82, v83                          // 000000006C1C: D296004F 0002A752
	v_cvt_pkrtz_f16_f32 v80, v84, v85                          // 000000006C24: D2960050 0002AB54
	v_cvt_pkrtz_f16_f32 v81, v86, v87                          // 000000006C2C: D2960051 0002AF56
	v_mfma_f32_16x16x16_f16 v[200:203], v[126:127], v[166:167], v[200:203]// 000000006C34: D3CD00C8 07234D7E
	v_mov_b32_dpp v18, v76 quad_perm:[1,0,3,2] row_mask:0xf bank_mask:0xf// 000000006C3C: 7E2402FA FF00B14C
	v_perm_b32 v52, v18, v76, v17                              // 000000006C44: D1ED0034 04469912
	v_mov_b32_dpp v18, v77 quad_perm:[1,0,3,2] row_mask:0xf bank_mask:0xf// 000000006C4C: 7E2402FA FF00B14D
	v_perm_b32 v53, v18, v77, v17                              // 000000006C54: D1ED0035 04469B12
	v_mov_b32_dpp v18, v78 quad_perm:[1,0,3,2] row_mask:0xf bank_mask:0xf// 000000006C5C: 7E2402FA FF00B14E
	v_perm_b32 v54, v18, v78, v17                              // 000000006C64: D1ED0036 04469D12
	v_mfma_f32_16x16x16_f16 v[204:207], v[128:129], v[166:167], v[204:207]// 000000006C6C: D3CD00CC 07334D80
	v_mov_b32_dpp v18, v79 quad_perm:[1,0,3,2] row_mask:0xf bank_mask:0xf// 000000006C74: 7E2402FA FF00B14F
	v_perm_b32 v55, v18, v79, v17                              // 000000006C7C: D1ED0037 04469F12
	v_mov_b32_dpp v18, v80 quad_perm:[1,0,3,2] row_mask:0xf bank_mask:0xf// 000000006C84: 7E2402FA FF00B150
	v_perm_b32 v56, v18, v80, v17                              // 000000006C8C: D1ED0038 0446A112
	v_mov_b32_dpp v18, v81 quad_perm:[1,0,3,2] row_mask:0xf bank_mask:0xf// 000000006C94: 7E2402FA FF00B151
	v_perm_b32 v57, v18, v81, v17                              // 000000006C9C: D1ED0039 0446A312
	v_mfma_f32_16x16x16_f16 v[208:211], v[130:131], v[166:167], v[208:211]// 000000006CA4: D3CD00D0 07434D82
	ds_write_b32 v20, v52 offset:17408                         // 000000006CAC: D81A4400 00003414
	ds_write_b32 v20, v53 offset:17952                         // 000000006CB4: D81A4620 00003514
	v_mfma_f32_16x16x16_f16 v[212:215], v[124:125], v[168:169], v[212:215]// 000000006CBC: D3CD00D4 0753517C
	v_subrev_f32_dpp v88, v177, v88 quad_perm:[0,0,0,0] row_mask:0xf bank_mask:0xf// 000000006CC4: 06B0B0FA FF0000B1
	v_subrev_f32_dpp v89, v177, v89 quad_perm:[1,1,1,1] row_mask:0xf bank_mask:0xf// 000000006CCC: 06B2B2FA FF0055B1
	v_subrev_f32_dpp v90, v177, v90 quad_perm:[2,2,2,2] row_mask:0xf bank_mask:0xf// 000000006CD4: 06B4B4FA FF00AAB1
	v_subrev_f32_dpp v91, v177, v91 quad_perm:[3,3,3,3] row_mask:0xf bank_mask:0xf// 000000006CDC: 06B6B6FA FF00FFB1
	v_subrev_f32_dpp v92, v177, v92 quad_perm:[0,0,0,0] row_mask:0xf bank_mask:0xf// 000000006CE4: 06B8B8FA FF0000B1
	v_subrev_f32_dpp v93, v177, v93 quad_perm:[1,1,1,1] row_mask:0xf bank_mask:0xf// 000000006CEC: 06BABAFA FF0055B1
	v_mfma_f32_16x16x16_f16 v[216:219], v[126:127], v[168:169], v[216:219]// 000000006CF4: D3CD00D8 0763517E
	ds_write_b32 v20, v54 offset:19712                         // 000000006CFC: D81A4D00 00003614
	ds_write_b32 v20, v55 offset:20256                         // 000000006D04: D81A4F20 00003714
	v_mfma_f32_16x16x16_f16 v[220:223], v[128:129], v[168:169], v[220:223]// 000000006D0C: D3CD00DC 07735180
	v_subrev_f32_dpp v94, v177, v94 quad_perm:[2,2,2,2] row_mask:0xf bank_mask:0xf// 000000006D14: 06BCBCFA FF00AAB1
	v_subrev_f32_dpp v95, v177, v95 quad_perm:[3,3,3,3] row_mask:0xf bank_mask:0xf// 000000006D1C: 06BEBEFA FF00FFB1
	v_subrev_f32_dpp v96, v177, v96 quad_perm:[0,0,0,0] row_mask:0xf bank_mask:0xf// 000000006D24: 06C0C0FA FF0000B1
	v_subrev_f32_dpp v97, v177, v97 quad_perm:[1,1,1,1] row_mask:0xf bank_mask:0xf// 000000006D2C: 06C2C2FA FF0055B1
	v_subrev_f32_dpp v98, v177, v98 quad_perm:[2,2,2,2] row_mask:0xf bank_mask:0xf// 000000006D34: 06C4C4FA FF00AAB1
	v_subrev_f32_dpp v99, v177, v99 quad_perm:[3,3,3,3] row_mask:0xf bank_mask:0xf// 000000006D3C: 06C6C6FA FF00FFB1
	v_mfma_f32_16x16x16_f16 v[224:227], v[130:131], v[168:169], v[224:227]// 000000006D44: D3CD00E0 07835182
	ds_write_b32 v20, v56 offset:22016                         // 000000006D4C: D81A5600 00003814
	ds_write_b32 v20, v57 offset:22560                         // 000000006D54: D81A5820 00003914
	v_mfma_f32_16x16x16_f16 v[180:183], v[132:133], v[170:171], v[180:183]// 000000006D5C: D3CD00B4 06D35584
	v_mul_f32_e32 v88, v64, v88                                // 000000006D64: 0AB0B140
	v_mul_f32_e32 v89, v65, v89                                // 000000006D68: 0AB2B341
	v_mul_f32_e32 v90, v66, v90                                // 000000006D6C: 0AB4B542
	v_mul_f32_e32 v91, v67, v91                                // 000000006D70: 0AB6B743
	v_mul_f32_e32 v92, v68, v92                                // 000000006D74: 0AB8B944
	v_mul_f32_e32 v93, v69, v93                                // 000000006D78: 0ABABB45
	v_mfma_f32_16x16x16_f16 v[184:187], v[134:135], v[170:171], v[184:187]// 000000006D7C: D3CD00B8 06E35586
	v_mul_f32_e32 v94, v70, v94                                // 000000006D84: 0ABCBD46
	v_mul_f32_e32 v95, v71, v95                                // 000000006D88: 0ABEBF47
	v_mul_f32_e32 v96, v72, v96                                // 000000006D8C: 0AC0C148
	v_mul_f32_e32 v97, v73, v97                                // 000000006D90: 0AC2C349
	v_mul_f32_e32 v98, v74, v98                                // 000000006D94: 0AC4C54A
	v_mul_f32_e32 v99, v75, v99                                // 000000006D98: 0AC6C74B
	v_mfma_f32_16x16x16_f16 v[188:191], v[136:137], v[170:171], v[188:191]// 000000006D9C: D3CD00BC 06F35588
	v_cvt_pkrtz_f16_f32 v82, v88, v89                          // 000000006DA4: D2960052 0002B358
	v_cvt_pkrtz_f16_f32 v83, v90, v91                          // 000000006DAC: D2960053 0002B75A
	v_cvt_pkrtz_f16_f32 v84, v92, v93                          // 000000006DB4: D2960054 0002BB5C
	v_cvt_pkrtz_f16_f32 v85, v94, v95                          // 000000006DBC: D2960055 0002BF5E
	v_cvt_pkrtz_f16_f32 v86, v96, v97                          // 000000006DC4: D2960056 0002C360
	v_cvt_pkrtz_f16_f32 v87, v98, v99                          // 000000006DCC: D2960057 0002C762
	v_mfma_f32_16x16x16_f16 v[192:195], v[138:139], v[170:171], v[192:195]// 000000006DD4: D3CD00C0 0703558A
	v_mov_b32_dpp v18, v82 quad_perm:[1,0,3,2] row_mask:0xf bank_mask:0xf// 000000006DDC: 7E2402FA FF00B152
	v_perm_b32 v58, v18, v82, v17                              // 000000006DE4: D1ED003A 0446A512
	v_mov_b32_dpp v18, v83 quad_perm:[1,0,3,2] row_mask:0xf bank_mask:0xf// 000000006DEC: 7E2402FA FF00B153
	v_perm_b32 v59, v18, v83, v17                              // 000000006DF4: D1ED003B 0446A712
	v_mov_b32_dpp v18, v84 quad_perm:[1,0,3,2] row_mask:0xf bank_mask:0xf// 000000006DFC: 7E2402FA FF00B154
	v_perm_b32 v60, v18, v84, v17                              // 000000006E04: D1ED003C 0446A912
	v_mfma_f32_16x16x16_f16 v[196:199], v[132:133], v[172:173], v[196:199]// 000000006E0C: D3CD00C4 07135984
	v_mov_b32_dpp v18, v85 quad_perm:[1,0,3,2] row_mask:0xf bank_mask:0xf// 000000006E14: 7E2402FA FF00B155
	v_perm_b32 v61, v18, v85, v17                              // 000000006E1C: D1ED003D 0446AB12
	v_mov_b32_dpp v18, v86 quad_perm:[1,0,3,2] row_mask:0xf bank_mask:0xf// 000000006E24: 7E2402FA FF00B156
	v_perm_b32 v62, v18, v86, v17                              // 000000006E2C: D1ED003E 0446AD12
	v_mov_b32_dpp v18, v87 quad_perm:[1,0,3,2] row_mask:0xf bank_mask:0xf// 000000006E34: 7E2402FA FF00B157
	v_perm_b32 v63, v18, v87, v17                              // 000000006E3C: D1ED003F 0446AF12
	v_mfma_f32_16x16x16_f16 v[200:203], v[134:135], v[172:173], v[200:203]// 000000006E44: D3CD00C8 07235986
	ds_write_b32 v20, v58 offset:24320                         // 000000006E4C: D81A5F00 00003A14
	ds_write_b32 v20, v59 offset:24864                         // 000000006E54: D81A6120 00003B14
	v_mfma_f32_16x16x16_f16 v[204:207], v[136:137], v[172:173], v[204:207]// 000000006E5C: D3CD00CC 07335988
	v_mfma_f32_16x16x16_f16 v[208:211], v[138:139], v[172:173], v[208:211]// 000000006E64: D3CD00D0 0743598A
	ds_write_b32 v20, v60 offset:26624                         // 000000006E6C: D81A6800 00003C14
	ds_write_b32 v20, v61 offset:27168                         // 000000006E74: D81A6A20 00003D14
	ds_write_b32 v20, v62 offset:28928                         // 000000006E7C: D81A7100 00003E14
	ds_write_b32 v20, v63 offset:29472                         // 000000006E84: D81A7320 00003F14
	v_mfma_f32_16x16x16_f16 v[212:215], v[132:133], v[174:175], v[212:215]// 000000006E8C: D3CD00D4 07535D84
	v_mfma_f32_16x16x16_f16 v[216:219], v[134:135], v[174:175], v[216:219]// 000000006E94: D3CD00D8 07635D86
	ds_write_b32 v15, v100 offset:4352                         // 000000006E9C: D81A1100 0000640F
	ds_write_b32 v15, v101 offset:5408                         // 000000006EA4: D81A1520 0000650F
	v_mfma_f32_16x16x16_f16 v[220:223], v[136:137], v[174:175], v[220:223]// 000000006EAC: D3CD00DC 07735D88
	s_nop 0                                                    // 000000006EB4: BF800000
	s_nop 0                                                    // 000000006EB8: BF800000
	s_nop 0                                                    // 000000006EBC: BF800000
	v_mfma_f32_16x16x16_f16 v[224:227], v[138:139], v[174:175], v[224:227]// 000000006EC0: D3CD00E0 07835D8A
	ds_write_b32 v15, v102 offset:6528                         // 000000006EC8: D81A1980 0000660F
	ds_write_b32 v15, v103 offset:7584                         // 000000006ED0: D81A1DA0 0000670F
	s_barrier                                                  // 000000006ED8: BF8A0000
	v_mfma_f32_16x16x16_f16 a[112:115], a[96:97], v[76:77], a[112:115]// 000000006EDC: D3CD8070 0DC29960
	buffer_atomic_pk_add_f16 v156, v7, s[32:35], 0 idxen       // 000000006EE4: E1382000 80089C07
	v_mfma_f32_16x16x16_f16 a[116:119], a[98:99], v[76:77], a[116:119]// 000000006EEC: D3CD8074 0DD29962
	ds_read_b32 v140, v23 offset:35584                         // 000000006EF4: D86C8B00 8C000017
	ds_read_b32 v144, v23 offset:35648                         // 000000006EFC: D86C8B40 90000017
	ds_read_b32 v176, v23 offset:35840                         // 000000006F04: D86C8C00 B0000017
	ds_read_b32 v177, v23 offset:35904                         // 000000006F0C: D86C8C40 B1000017
	v_mfma_f32_16x16x16_f16 a[120:123], a[100:101], v[76:77], a[120:123]// 000000006F14: D3CD8078 0DE29964
	s_waitcnt lgkmcnt(8)                                       // 000000006F1C: BF8CC87F
	s_barrier                                                  // 000000006F20: BF8A0000
	v_mfma_f32_16x16x16_f16 a[124:127], a[102:103], v[76:77], a[124:127]// 000000006F24: D3CD807C 0DF29966
	ds_read_b128 v[52:55], v19 offset:17408                    // 000000006F2C: D9FE4400 34000013
	v_mfma_f32_16x16x16_f16 a[128:131], a[96:97], v[78:79], a[128:131]// 000000006F34: D3CD8080 0E029D60
	v_mfma_f32_16x16x16_f16 a[132:135], a[98:99], v[78:79], a[132:135]// 000000006F3C: D3CD8084 0E129D62
	ds_read_b128 v[56:59], v19 offset:18560                    // 000000006F44: D9FE4880 38000013
	v_mfma_f32_16x16x16_f16 a[136:139], a[100:101], v[78:79], a[136:139]// 000000006F4C: D3CD8088 0E229D64
	buffer_atomic_pk_add_f16 v157, v8, s[32:35], 0 idxen       // 000000006F54: E1382000 80089D08
	v_mfma_f32_16x16x16_f16 a[140:143], a[102:103], v[78:79], a[140:143]// 000000006F5C: D3CD808C 0E329D66
	ds_read_b128 v[60:63], v19 offset:19712                    // 000000006F64: D9FE4D00 3C000013
	v_mfma_f32_16x16x16_f16 a[144:147], a[96:97], v[80:81], a[144:147]// 000000006F6C: D3CD8090 0E42A160
	v_mfma_f32_16x16x16_f16 a[148:151], a[98:99], v[80:81], a[148:151]// 000000006F74: D3CD8094 0E52A162
	ds_read_b128 v[64:67], v19 offset:20864                    // 000000006F7C: D9FE5180 40000013
	v_mfma_f32_16x16x16_f16 a[152:155], a[100:101], v[80:81], a[152:155]// 000000006F84: D3CD8098 0E62A164
	v_mfma_f32_16x16x16_f16 a[156:159], a[102:103], v[80:81], a[156:159]// 000000006F8C: D3CD809C 0E72A166
	ds_read_b128 v[68:71], v19 offset:22016                    // 000000006F94: D9FE5600 44000013
	v_mfma_f32_16x16x16_f16 a[112:115], a[104:105], v[82:83], a[112:115]// 000000006F9C: D3CD8070 0DC2A568
	buffer_atomic_pk_add_f16 v158, v9, s[32:35], 0 idxen       // 000000006FA4: E1382000 80089E09
	v_mfma_f32_16x16x16_f16 a[116:119], a[106:107], v[82:83], a[116:119]// 000000006FAC: D3CD8074 0DD2A56A
	ds_read_b128 v[72:75], v19 offset:23168                    // 000000006FB4: D9FE5A80 48000013
	v_mfma_f32_16x16x16_f16 a[120:123], a[108:109], v[82:83], a[120:123]// 000000006FBC: D3CD8078 0DE2A56C
	v_mfma_f32_16x16x16_f16 a[124:127], a[110:111], v[82:83], a[124:127]// 000000006FC4: D3CD807C 0DF2A56E
	ds_write_b32 v15, v104 offset:13056                        // 000000006FCC: D81A3300 0000680F
	v_mfma_f32_16x16x16_f16 a[128:131], a[104:105], v[84:85], a[128:131]// 000000006FD4: D3CD8080 0E02A968
	v_mfma_f32_16x16x16_f16 a[132:135], a[106:107], v[84:85], a[132:135]// 000000006FDC: D3CD8084 0E12A96A
	ds_write_b32 v15, v105 offset:14112                        // 000000006FE4: D81A3720 0000690F
	v_mfma_f32_16x16x16_f16 a[136:139], a[108:109], v[84:85], a[136:139]// 000000006FEC: D3CD8088 0E22A96C
	buffer_atomic_pk_add_f16 v159, v10, s[32:35], 0 idxen      // 000000006FF4: E1382000 80089F0A
	v_mfma_f32_16x16x16_f16 a[140:143], a[110:111], v[84:85], a[140:143]// 000000006FFC: D3CD808C 0E32A96E
	ds_write_b32 v15, v106 offset:15232                        // 000000007004: D81A3B80 00006A0F
	v_mfma_f32_16x16x16_f16 a[144:147], a[104:105], v[86:87], a[144:147]// 00000000700C: D3CD8090 0E42AD68
	v_mfma_f32_16x16x16_f16 a[148:151], a[106:107], v[86:87], a[148:151]// 000000007014: D3CD8094 0E52AD6A
	ds_write_b32 v15, v107 offset:16288                        // 00000000701C: D81A3FA0 00006B0F
	v_mfma_f32_16x16x16_f16 a[152:155], a[108:109], v[86:87], a[152:155]// 000000007024: D3CD8098 0E62AD6C
	v_mfma_f32_16x16x16_f16 a[156:159], a[110:111], v[86:87], a[156:159]// 00000000702C: D3CD809C 0E72AD6E
	s_waitcnt vmcnt(4) lgkmcnt(4)                              // 000000007034: BF8C0474
	s_barrier                                                  // 000000007038: BF8A0000
	v_mfma_f32_16x16x16_f16 v[148:151], a[24:25], v[52:53], 0  // 00000000703C: D3CD0094 0A026918
	v_mul_f32_e32 v140, s49, v140                              // 000000007044: 0B191831
	v_mul_f32_e32 v144, s49, v144                              // 000000007048: 0B212031
	s_nop 0                                                    // 00000000704C: BF800000
	v_mfma_f32_16x16x16_f16 v[148:151], a[28:29], v[54:55], v[148:151]// 000000007050: D3CD0094 0E526D1C
	ds_read_b128 a[96:99], v12                                 // 000000007058: DBFE0000 6000000C
	buffer_load_dword v36, v1, s[8:11], 0 idxen                // 000000007060: E0502000 80022401
	v_mfma_f32_16x16x16_f16 v[148:151], a[32:33], v[56:57], v[148:151]// 000000007068: D3CD0094 0E527120
	v_mfma_f32_16x16x16_f16 v[148:151], a[36:37], v[58:59], v[148:151]// 000000007070: D3CD0094 0E527524
	ds_read_b128 a[100:103], v12 offset:512                    // 000000007078: DBFE0200 6400000C
	buffer_load_dword v37, v2, s[8:11], 0 idxen                // 000000007080: E0502000 80022502
	v_mfma_f32_16x16x16_f16 v[148:151], a[40:41], v[60:61], v[148:151]// 000000007088: D3CD0094 0E527928
	v_perm_b32 v100, v41, v40, s63                             // 000000007090: D1ED0064 00FE5129
	v_perm_b32 v101, v41, v40, s64                             // 000000007098: D1ED0065 01025129
	v_mfma_f32_16x16x16_f16 v[148:151], a[44:45], v[62:63], v[148:151]// 0000000070A0: D3CD0094 0E527D2C
	ds_read_b128 a[104:107], v12 offset:2176                   // 0000000070A8: DBFE0880 6800000C
	buffer_load_dword v38, v3, s[8:11], 0 idxen                // 0000000070B0: E0502000 80022603
	v_mfma_f32_16x16x16_f16 v[148:151], a[48:49], v[64:65], v[148:151]// 0000000070B8: D3CD0094 0E528130
	v_perm_b32 v102, v43, v42, s63                             // 0000000070C0: D1ED0066 00FE552B
	v_perm_b32 v103, v43, v42, s64                             // 0000000070C8: D1ED0067 0102552B
	v_mfma_f32_16x16x16_f16 v[148:151], a[52:53], v[66:67], v[148:151]// 0000000070D0: D3CD0094 0E528534
	ds_read_b128 a[108:111], v12 offset:2688                   // 0000000070D8: DBFE0A80 6C00000C
	buffer_load_dword v39, v4, s[8:11], 0 idxen                // 0000000070E0: E0502000 80022704
	v_mfma_f32_16x16x16_f16 v[148:151], a[56:57], v[68:69], v[148:151]// 0000000070E8: D3CD0094 0E528938
	v_perm_b32 v104, v49, v48, s63                             // 0000000070F0: D1ED0068 00FE6131
	v_perm_b32 v105, v49, v48, s64                             // 0000000070F8: D1ED0069 01026131
	v_mfma_f32_16x16x16_f16 v[148:151], a[60:61], v[70:71], v[148:151]// 000000007100: D3CD0094 0E528D3C
	ds_read_b128 v[108:111], v12 offset:8704                   // 000000007108: D9FE2200 6C00000C
	buffer_load_dword v44, v1, s[20:23], 0 idxen               // 000000007110: E0502000 80052C01
	v_mfma_f32_16x16x16_f16 v[148:151], a[64:65], v[72:73], v[148:151]// 000000007118: D3CD0094 0E529140
	v_perm_b32 v106, v51, v50, s63                             // 000000007120: D1ED006A 00FE6533
	v_perm_b32 v107, v51, v50, s64                             // 000000007128: D1ED006B 01026533
	v_mfma_f32_16x16x16_f16 v[148:151], a[68:69], v[74:75], v[148:151]// 000000007130: D3CD0094 0E529544
	ds_read_b128 v[112:115], v12 offset:9216                   // 000000007138: D9FE2400 7000000C
	buffer_load_dword v45, v2, s[20:23], 0 idxen               // 000000007140: E0502000 80052D02
	v_mfma_f32_16x16x16_f16 v[152:155], a[26:27], v[52:53], 0  // 000000007148: D3CD0098 0A02691A
	v_mov_b32_dpp v143, v140 quad_perm:[3,3,3,3] row_mask:0xf bank_mask:0xf// 000000007150: 7F1E02FA FF00FF8C
	v_mov_b32_dpp v142, v140 quad_perm:[2,2,2,2] row_mask:0xf bank_mask:0xf// 000000007158: 7F1C02FA FF00AA8C
	v_mov_b32_dpp v141, v140 quad_perm:[1,1,1,1] row_mask:0xf bank_mask:0xf// 000000007160: 7F1A02FA FF00558C
	v_mov_b32_dpp v140, v140 quad_perm:[0,0,0,0] row_mask:0xf bank_mask:0xf// 000000007168: 7F1802FA FF00008C
	v_mfma_f32_16x16x16_f16 v[152:155], a[30:31], v[54:55], v[152:155]// 000000007170: D3CD0098 0E626D1E
	ds_read_b128 v[116:119], v12 offset:10880                  // 000000007178: D9FE2A80 7400000C
	buffer_load_dword v46, v3, s[20:23], 0 idxen               // 000000007180: E0502000 80052E03
	v_mfma_f32_16x16x16_f16 v[152:155], a[34:35], v[56:57], v[152:155]// 000000007188: D3CD0098 0E627122
	v_mov_b32_dpp v147, v144 quad_perm:[3,3,3,3] row_mask:0xf bank_mask:0xf// 000000007190: 7F2602FA FF00FF90
	v_mov_b32_dpp v146, v144 quad_perm:[2,2,2,2] row_mask:0xf bank_mask:0xf// 000000007198: 7F2402FA FF00AA90
	v_mov_b32_dpp v145, v144 quad_perm:[1,1,1,1] row_mask:0xf bank_mask:0xf// 0000000071A0: 7F2202FA FF005590
	v_mov_b32_dpp v144, v144 quad_perm:[0,0,0,0] row_mask:0xf bank_mask:0xf// 0000000071A8: 7F2002FA FF000090
	s_add_u32 s60, 0x80, s59                                   // 0000000071B0: 803C3BFF 00000080
	v_mfma_f32_16x16x16_f16 v[152:155], a[38:39], v[58:59], v[152:155]// 0000000071B8: D3CD0098 0E627526
	ds_read_b128 v[120:123], v12 offset:11392                  // 0000000071C0: D9FE2C80 7800000C
	buffer_load_dword v47, v4, s[20:23], 0 idxen               // 0000000071C8: E0502000 80052F04
	v_mfma_f32_16x16x16_f16 v[152:155], a[42:43], v[60:61], v[152:155]// 0000000071D0: D3CD0098 0E62792A
	s_cmp_lt_u32 s60, s58                                      // 0000000071D8: BF0A3A3C
	s_cselect_b32 s68, s68, 0                                  // 0000000071DC: 85448044
	s_cselect_b32 s69, s69, 0                                  // 0000000071E0: 85458045
	v_mfma_f32_16x16x16_f16 v[152:155], a[46:47], v[62:63], v[152:155]// 0000000071E4: D3CD0098 0E627D2E
	buffer_load_dword v11, s[24:27], 0 idxen lds               // 0000000071EC: E0512000 8006000B
	v_mfma_f32_16x16x16_f16 v[152:155], a[50:51], v[64:65], v[152:155]// 0000000071F4: D3CD0098 0E628132
	s_add_u32 s8, s68, s8                                      // 0000000071FC: 80080844
	s_addc_u32 s9, 0, s9                                       // 000000007200: 82090980
	v_mfma_f32_16x16x16_f16 v[152:155], a[54:55], v[66:67], v[152:155]// 000000007204: D3CD0098 0E628536
	s_add_u32 s20, s68, s20                                    // 00000000720C: 80141444
	s_addc_u32 s21, 0, s21                                     // 000000007210: 82151580
	v_mfma_f32_16x16x16_f16 v[152:155], a[58:59], v[68:69], v[152:155]// 000000007214: D3CD0098 0E62893A
	s_mov_b32 m0, s79                                          // 00000000721C: BEFC004F
	v_add_u32_e32 v11, s69, v11                                // 000000007220: 68161645
	v_mfma_f32_16x16x16_f16 v[152:155], a[62:63], v[70:71], v[152:155]// 000000007224: D3CD0098 0E628D3E
	s_cmp_ge_u32 s59, s73                                      // 00000000722C: BF09493B
	s_cselect_b32 s66, s67, s66                                // 000000007230: 85424243
	v_mfma_f32_16x16x16_f16 v[152:155], a[66:67], v[72:73], v[152:155]// 000000007234: D3CD0098 0E629142
	s_addk_i32 s59, 0x20                                       // 00000000723C: B73B0020
	s_nop 0                                                    // 000000007240: BF800000
	s_cmp_lt_i32 s59, s58                                      // 000000007244: BF043A3B
	v_mfma_f32_16x16x16_f16 v[152:155], a[70:71], v[74:75], v[152:155]// 000000007248: D3CD0098 0E629546
	s_cbranch_scc0 label_0D16                                  // 000000007250: BF840001
	s_branch label_05B7                                        // 000000007254: BF82F8A1

0000000000007258 <label_0D16>:
	s_nop 0                                                    // 000000007258: BF800000
	s_nop 0                                                    // 00000000725C: BF800000
	s_branch label_1478                                        // 000000007260: BF82075F

0000000000007264 <label_0D19>:
	s_waitcnt lgkmcnt(4)                                       // 000000007264: BF8CC47F
	s_barrier                                                  // 000000007268: BF8A0000
	v_mfma_f32_16x16x16_f16 v[52:55], a[96:97], a[0:1], 0      // 00000000726C: D3CD0034 1A020160
	v_mul_f32_e32 v148, s48, v148                              // 000000007274: 0B292830
	v_mul_f32_e32 v149, s48, v149                              // 000000007278: 0B2B2A30
	v_mfma_f32_16x16x16_f16 v[52:55], a[98:99], a[2:3], v[52:55]// 00000000727C: D3CD0034 1CD20562
	ds_write_b32 v13, v48 offset:8704                          // 000000007284: D81A2200 0000300D
	ds_write_b32 v13, v49 offset:9760                          // 00000000728C: D81A2620 0000310D
	v_mfma_f32_16x16x16_f16 v[52:55], a[100:101], a[4:5], v[52:55]// 000000007294: D3CD0034 1CD20964
	v_mul_f32_e32 v150, s48, v150                              // 00000000729C: 0B2D2C30
	v_mul_f32_e32 v151, s48, v151                              // 0000000072A0: 0B2F2E30
	v_mfma_f32_16x16x16_f16 v[52:55], a[102:103], a[6:7], v[52:55]// 0000000072A4: D3CD0034 1CD20D66
	ds_write_b32 v13, v50 offset:10880                         // 0000000072AC: D81A2A80 0000320D
	ds_write_b32 v13, v51 offset:11936                         // 0000000072B4: D81A2EA0 0000330D
	v_mfma_f32_16x16x16_f16 v[56:59], a[96:97], a[8:9], 0      // 0000000072BC: D3CD0038 1A021160
	v_mul_f32_e32 v152, s48, v152                              // 0000000072C4: 0B313030
	v_mul_f32_e32 v153, s48, v153                              // 0000000072C8: 0B333230
	v_mfma_f32_16x16x16_f16 v[56:59], a[98:99], a[10:11], v[56:59]// 0000000072CC: D3CD0038 1CE21562
	v_mul_f32_e32 v154, s48, v154                              // 0000000072D4: 0B353430
	v_mul_f32_e32 v155, s48, v155                              // 0000000072D8: 0B373630
	v_mfma_f32_16x16x16_f16 v[56:59], a[100:101], a[12:13], v[56:59]// 0000000072DC: D3CD0038 1CE21964
	v_cvt_pkrtz_f16_f32 v148, v148, v149                       // 0000000072E4: D2960094 00032B94
	v_cvt_pkrtz_f16_f32 v149, v150, v151                       // 0000000072EC: D2960095 00032F96
	v_mfma_f32_16x16x16_f16 v[56:59], a[102:103], a[14:15], v[56:59]// 0000000072F4: D3CD0038 1CE21D66
	v_cvt_pkrtz_f16_f32 v150, v152, v153                       // 0000000072FC: D2960096 00033398
	v_cvt_pkrtz_f16_f32 v151, v154, v155                       // 000000007304: D2960097 0003379A
	v_mfma_f32_16x16x16_f16 v[60:63], a[96:97], a[16:17], 0    // 00000000730C: D3CD003C 1A022160
	v_mfma_f32_16x16x16_f16 v[60:63], a[98:99], a[18:19], v[60:63]// 000000007314: D3CD003C 1CF22562
	ds_write_b64 v22, v[148:149] offset:31232                  // 00000000731C: D89A7A00 00009416
	v_mfma_f32_16x16x16_f16 v[60:63], a[100:101], a[20:21], v[60:63]// 000000007324: D3CD003C 1CF22964
	v_mfma_f32_16x16x16_f16 v[60:63], a[102:103], a[22:23], v[60:63]// 00000000732C: D3CD003C 1CF22D66
	ds_write_b64 v22, v[150:151] offset:31776                  // 000000007334: D89A7C20 00009616
	v_mfma_f32_16x16x16_f16 v[64:67], a[104:105], a[0:1], 0    // 00000000733C: D3CD0040 1A020168
	v_mfma_f32_16x16x16_f16 v[64:67], a[106:107], a[2:3], v[64:67]// 000000007344: D3CD0040 1D02056A
	ds_read_b128 v[124:127], v14 offset:13056                  // 00000000734C: D9FE3300 7C00000E
	ds_write_b32 v13, v40                                      // 000000007354: D81A0000 0000280D
	v_mfma_f32_16x16x16_f16 v[64:67], a[108:109], a[4:5], v[64:67]// 00000000735C: D3CD0040 1D02096C
	v_mfma_f32_16x16x16_f16 v[64:67], a[110:111], a[6:7], v[64:67]// 000000007364: D3CD0040 1D020D6E
	v_mfma_f32_16x16x16_f16 v[68:71], a[104:105], a[8:9], 0    // 00000000736C: D3CD0044 1A021168
	ds_read_b128 v[128:131], v14 offset:13568                  // 000000007374: D9FE3500 8000000E
	ds_write_b32 v13, v41 offset:1056                          // 00000000737C: D81A0420 0000290D
	v_mfma_f32_16x16x16_f16 v[68:71], a[106:107], a[10:11], v[68:71]// 000000007384: D3CD0044 1D12156A
	v_mfma_f32_16x16x16_f16 v[68:71], a[108:109], a[12:13], v[68:71]// 00000000738C: D3CD0044 1D12196C
	v_mfma_f32_16x16x16_f16 v[68:71], a[110:111], a[14:15], v[68:71]// 000000007394: D3CD0044 1D121D6E
	ds_read_b128 v[132:135], v14 offset:15232                  // 00000000739C: D9FE3B80 8400000E
	ds_write_b32 v13, v42 offset:2176                          // 0000000073A4: D81A0880 00002A0D
	v_mfma_f32_16x16x16_f16 v[72:75], a[104:105], a[16:17], 0  // 0000000073AC: D3CD0048 1A022168
	v_mfma_f32_16x16x16_f16 v[72:75], a[106:107], a[18:19], v[72:75]// 0000000073B4: D3CD0048 1D22256A
	v_mfma_f32_16x16x16_f16 v[72:75], a[108:109], a[20:21], v[72:75]// 0000000073BC: D3CD0048 1D22296C
	ds_read_b128 v[136:139], v14 offset:15744                  // 0000000073C4: D9FE3D80 8800000E
	ds_write_b32 v13, v43 offset:3232                          // 0000000073CC: D81A0CA0 00002B0D
	v_mfma_f32_16x16x16_f16 v[72:75], a[110:111], a[22:23], v[72:75]// 0000000073D4: D3CD0048 1D222D6E
	s_cmp_lt_i32 s74, 12                                       // 0000000073DC: BF048C4A
	s_cbranch_scc0 label_0E5F                                  // 0000000073E0: BF8400E6
	s_mov_b32 s60, 0xffe0fffe                                  // 0000000073E4: BEBC00FF FFE0FFFE
	s_mov_b32 s61, 0xe000fe00                                  // 0000000073EC: BEBD00FF E000FE00
	s_nop 0                                                    // 0000000073F4: BF800000
	s_add_u32 s62, 0, s47                                      // 0000000073F8: 803E2F80
	s_cmp_lt_i32 s74, s62                                      // 0000000073FC: BF043E4A
	s_cbranch_scc1 label_0DA9                                  // 000000007400: BF850028
	s_cmp_eq_i32 s74, s62                                      // 000000007404: BF003E4A
	s_cbranch_scc1 label_0D8E                                  // 000000007408: BF85000B
	s_add_u32 s62, 4, s47                                      // 00000000740C: 803E2F84
	s_cmp_lt_i32 s74, s62                                      // 000000007410: BF043E4A
	s_cbranch_scc1 label_0DC9                                  // 000000007414: BF850043
	s_cmp_eq_i32 s74, s62                                      // 000000007418: BF003E4A
	s_cbranch_scc1 label_0DAE                                  // 00000000741C: BF850026
	s_add_u32 s62, 8, s47                                      // 000000007420: 803E2F88
	s_cmp_lt_i32 s74, s62                                      // 000000007424: BF043E4A
	s_cbranch_scc1 label_0DE9                                  // 000000007428: BF85005E
	s_cmp_eq_i32 s74, s62                                      // 00000000742C: BF003E4A
	s_cbranch_scc1 label_0DCE                                  // 000000007430: BF850041
	s_branch label_0DEE                                        // 000000007434: BF820060

0000000000007438 <label_0D8E>:
	v_cndmask_b32_e64 v52, v52, v178, s[60:61]                 // 000000007438: D1000034 00F36534
	s_lshl_b32 s60, s60, 1                                     // 000000007440: 8E3C813C
	s_lshl_b32 s61, s61, 1                                     // 000000007444: 8E3D813D
	s_and_b32 s60, 0xfffeffff, s60                             // 000000007448: 863C3CFF FFFEFFFF
	s_and_b32 s61, 0xfffeffff, s61                             // 000000007450: 863D3DFF FFFEFFFF
	v_cndmask_b32_e64 v53, v53, v178, s[60:61]                 // 000000007458: D1000035 00F36535
	s_lshl_b32 s60, s60, 1                                     // 000000007460: 8E3C813C
	s_lshl_b32 s61, s61, 1                                     // 000000007464: 8E3D813D
	s_and_b32 s60, 0xfffeffff, s60                             // 000000007468: 863C3CFF FFFEFFFF
	s_and_b32 s61, 0xfffeffff, s61                             // 000000007470: 863D3DFF FFFEFFFF
	v_cndmask_b32_e64 v54, v54, v178, s[60:61]                 // 000000007478: D1000036 00F36536
	s_lshl_b32 s60, s60, 1                                     // 000000007480: 8E3C813C
	s_lshl_b32 s61, s61, 1                                     // 000000007484: 8E3D813D
	s_and_b32 s60, 0xfffeffff, s60                             // 000000007488: 863C3CFF FFFEFFFF
	s_and_b32 s61, 0xfffeffff, s61                             // 000000007490: 863D3DFF FFFEFFFF
	v_cndmask_b32_e64 v55, v55, v178, s[60:61]                 // 000000007498: D1000037 00F36537
	s_branch label_0DC9                                        // 0000000074A0: BF820020

00000000000074a4 <label_0DA9>:
	v_mov_b32_e32 v52, v178                                    // 0000000074A4: 7E6803B2
	v_mov_b32_e32 v53, v178                                    // 0000000074A8: 7E6A03B2
	v_mov_b32_e32 v54, v178                                    // 0000000074AC: 7E6C03B2
	v_mov_b32_e32 v55, v178                                    // 0000000074B0: 7E6E03B2
	s_branch label_0DC9                                        // 0000000074B4: BF82001B

00000000000074b8 <label_0DAE>:
	v_cndmask_b32_e64 v56, v56, v178, s[60:61]                 // 0000000074B8: D1000038 00F36538
	s_lshl_b32 s60, s60, 1                                     // 0000000074C0: 8E3C813C
	s_lshl_b32 s61, s61, 1                                     // 0000000074C4: 8E3D813D
	s_and_b32 s60, 0xfffeffff, s60                             // 0000000074C8: 863C3CFF FFFEFFFF
	s_and_b32 s61, 0xfffeffff, s61                             // 0000000074D0: 863D3DFF FFFEFFFF
	v_cndmask_b32_e64 v57, v57, v178, s[60:61]                 // 0000000074D8: D1000039 00F36539
	s_lshl_b32 s60, s60, 1                                     // 0000000074E0: 8E3C813C
	s_lshl_b32 s61, s61, 1                                     // 0000000074E4: 8E3D813D
	s_and_b32 s60, 0xfffeffff, s60                             // 0000000074E8: 863C3CFF FFFEFFFF
	s_and_b32 s61, 0xfffeffff, s61                             // 0000000074F0: 863D3DFF FFFEFFFF
	v_cndmask_b32_e64 v58, v58, v178, s[60:61]                 // 0000000074F8: D100003A 00F3653A
	s_lshl_b32 s60, s60, 1                                     // 000000007500: 8E3C813C
	s_lshl_b32 s61, s61, 1                                     // 000000007504: 8E3D813D
	s_and_b32 s60, 0xfffeffff, s60                             // 000000007508: 863C3CFF FFFEFFFF
	s_and_b32 s61, 0xfffeffff, s61                             // 000000007510: 863D3DFF FFFEFFFF
	v_cndmask_b32_e64 v59, v59, v178, s[60:61]                 // 000000007518: D100003B 00F3653B
	s_branch label_0DE9                                        // 000000007520: BF820020

0000000000007524 <label_0DC9>:
	v_mov_b32_e32 v56, v178                                    // 000000007524: 7E7003B2
	v_mov_b32_e32 v57, v178                                    // 000000007528: 7E7203B2
	v_mov_b32_e32 v58, v178                                    // 00000000752C: 7E7403B2
	v_mov_b32_e32 v59, v178                                    // 000000007530: 7E7603B2
	s_branch label_0DE9                                        // 000000007534: BF82001B

0000000000007538 <label_0DCE>:
	v_cndmask_b32_e64 v60, v60, v178, s[60:61]                 // 000000007538: D100003C 00F3653C
	s_lshl_b32 s60, s60, 1                                     // 000000007540: 8E3C813C
	s_lshl_b32 s61, s61, 1                                     // 000000007544: 8E3D813D
	s_and_b32 s60, 0xfffeffff, s60                             // 000000007548: 863C3CFF FFFEFFFF
	s_and_b32 s61, 0xfffeffff, s61                             // 000000007550: 863D3DFF FFFEFFFF
	v_cndmask_b32_e64 v61, v61, v178, s[60:61]                 // 000000007558: D100003D 00F3653D
	s_lshl_b32 s60, s60, 1                                     // 000000007560: 8E3C813C
	s_lshl_b32 s61, s61, 1                                     // 000000007564: 8E3D813D
	s_and_b32 s60, 0xfffeffff, s60                             // 000000007568: 863C3CFF FFFEFFFF
	s_and_b32 s61, 0xfffeffff, s61                             // 000000007570: 863D3DFF FFFEFFFF
	v_cndmask_b32_e64 v62, v62, v178, s[60:61]                 // 000000007578: D100003E 00F3653E
	s_lshl_b32 s60, s60, 1                                     // 000000007580: 8E3C813C
	s_lshl_b32 s61, s61, 1                                     // 000000007584: 8E3D813D
	s_and_b32 s60, 0xfffeffff, s60                             // 000000007588: 863C3CFF FFFEFFFF
	s_and_b32 s61, 0xfffeffff, s61                             // 000000007590: 863D3DFF FFFEFFFF
	v_cndmask_b32_e64 v63, v63, v178, s[60:61]                 // 000000007598: D100003F 00F3653F
	s_branch label_0DEE                                        // 0000000075A0: BF820005

00000000000075a4 <label_0DE9>:
	v_mov_b32_e32 v60, v178                                    // 0000000075A4: 7E7803B2
	v_mov_b32_e32 v61, v178                                    // 0000000075A8: 7E7A03B2
	v_mov_b32_e32 v62, v178                                    // 0000000075AC: 7E7C03B2
	v_mov_b32_e32 v63, v178                                    // 0000000075B0: 7E7E03B2
	s_branch label_0DEE                                        // 0000000075B4: BF820000

00000000000075b8 <label_0DEE>:
	s_addk_i32 s74, 0x1                                        // 0000000075B8: B74A0001
	s_add_u32 s62, 0, s47                                      // 0000000075BC: 803E2F80
	s_cmp_lt_i32 s74, s62                                      // 0000000075C0: BF043E4A
	s_cbranch_scc1 label_0E1A                                  // 0000000075C4: BF850028
	s_cmp_eq_i32 s74, s62                                      // 0000000075C8: BF003E4A
	s_cbranch_scc1 label_0DFF                                  // 0000000075CC: BF85000B
	s_add_u32 s62, 4, s47                                      // 0000000075D0: 803E2F84
	s_cmp_lt_i32 s74, s62                                      // 0000000075D4: BF043E4A
	s_cbranch_scc1 label_0E3A                                  // 0000000075D8: BF850043
	s_cmp_eq_i32 s74, s62                                      // 0000000075DC: BF003E4A
	s_cbranch_scc1 label_0E1F                                  // 0000000075E0: BF850026
	s_add_u32 s62, 8, s47                                      // 0000000075E4: 803E2F88
	s_cmp_lt_i32 s74, s62                                      // 0000000075E8: BF043E4A
	s_cbranch_scc1 label_0E5A                                  // 0000000075EC: BF85005E
	s_cmp_eq_i32 s74, s62                                      // 0000000075F0: BF003E4A
	s_cbranch_scc1 label_0E3F                                  // 0000000075F4: BF850041
	s_branch label_0E5F                                        // 0000000075F8: BF820060

00000000000075fc <label_0DFF>:
	v_cndmask_b32_e64 v64, v64, v178, s[60:61]                 // 0000000075FC: D1000040 00F36540
	s_lshl_b32 s60, s60, 1                                     // 000000007604: 8E3C813C
	s_lshl_b32 s61, s61, 1                                     // 000000007608: 8E3D813D
	s_and_b32 s60, 0xfffeffff, s60                             // 00000000760C: 863C3CFF FFFEFFFF
	s_and_b32 s61, 0xfffeffff, s61                             // 000000007614: 863D3DFF FFFEFFFF
	v_cndmask_b32_e64 v65, v65, v178, s[60:61]                 // 00000000761C: D1000041 00F36541
	s_lshl_b32 s60, s60, 1                                     // 000000007624: 8E3C813C
	s_lshl_b32 s61, s61, 1                                     // 000000007628: 8E3D813D
	s_and_b32 s60, 0xfffeffff, s60                             // 00000000762C: 863C3CFF FFFEFFFF
	s_and_b32 s61, 0xfffeffff, s61                             // 000000007634: 863D3DFF FFFEFFFF
	v_cndmask_b32_e64 v66, v66, v178, s[60:61]                 // 00000000763C: D1000042 00F36542
	s_lshl_b32 s60, s60, 1                                     // 000000007644: 8E3C813C
	s_lshl_b32 s61, s61, 1                                     // 000000007648: 8E3D813D
	s_and_b32 s60, 0xfffeffff, s60                             // 00000000764C: 863C3CFF FFFEFFFF
	s_and_b32 s61, 0xfffeffff, s61                             // 000000007654: 863D3DFF FFFEFFFF
	v_cndmask_b32_e64 v67, v67, v178, s[60:61]                 // 00000000765C: D1000043 00F36543
	s_branch label_0E3A                                        // 000000007664: BF820020

0000000000007668 <label_0E1A>:
	v_mov_b32_e32 v64, v178                                    // 000000007668: 7E8003B2
	v_mov_b32_e32 v65, v178                                    // 00000000766C: 7E8203B2
	v_mov_b32_e32 v66, v178                                    // 000000007670: 7E8403B2
	v_mov_b32_e32 v67, v178                                    // 000000007674: 7E8603B2
	s_branch label_0E3A                                        // 000000007678: BF82001B

000000000000767c <label_0E1F>:
	v_cndmask_b32_e64 v68, v68, v178, s[60:61]                 // 00000000767C: D1000044 00F36544
	s_lshl_b32 s60, s60, 1                                     // 000000007684: 8E3C813C
	s_lshl_b32 s61, s61, 1                                     // 000000007688: 8E3D813D
	s_and_b32 s60, 0xfffeffff, s60                             // 00000000768C: 863C3CFF FFFEFFFF
	s_and_b32 s61, 0xfffeffff, s61                             // 000000007694: 863D3DFF FFFEFFFF
	v_cndmask_b32_e64 v69, v69, v178, s[60:61]                 // 00000000769C: D1000045 00F36545
	s_lshl_b32 s60, s60, 1                                     // 0000000076A4: 8E3C813C
	s_lshl_b32 s61, s61, 1                                     // 0000000076A8: 8E3D813D
	s_and_b32 s60, 0xfffeffff, s60                             // 0000000076AC: 863C3CFF FFFEFFFF
	s_and_b32 s61, 0xfffeffff, s61                             // 0000000076B4: 863D3DFF FFFEFFFF
	v_cndmask_b32_e64 v70, v70, v178, s[60:61]                 // 0000000076BC: D1000046 00F36546
	s_lshl_b32 s60, s60, 1                                     // 0000000076C4: 8E3C813C
	s_lshl_b32 s61, s61, 1                                     // 0000000076C8: 8E3D813D
	s_and_b32 s60, 0xfffeffff, s60                             // 0000000076CC: 863C3CFF FFFEFFFF
	s_and_b32 s61, 0xfffeffff, s61                             // 0000000076D4: 863D3DFF FFFEFFFF
	v_cndmask_b32_e64 v71, v71, v178, s[60:61]                 // 0000000076DC: D1000047 00F36547
	s_branch label_0E5A                                        // 0000000076E4: BF820020

00000000000076e8 <label_0E3A>:
	v_mov_b32_e32 v68, v178                                    // 0000000076E8: 7E8803B2
	v_mov_b32_e32 v69, v178                                    // 0000000076EC: 7E8A03B2
	v_mov_b32_e32 v70, v178                                    // 0000000076F0: 7E8C03B2
	v_mov_b32_e32 v71, v178                                    // 0000000076F4: 7E8E03B2
	s_branch label_0E5A                                        // 0000000076F8: BF82001B

00000000000076fc <label_0E3F>:
	v_cndmask_b32_e64 v72, v72, v178, s[60:61]                 // 0000000076FC: D1000048 00F36548
	s_lshl_b32 s60, s60, 1                                     // 000000007704: 8E3C813C
	s_lshl_b32 s61, s61, 1                                     // 000000007708: 8E3D813D
	s_and_b32 s60, 0xfffeffff, s60                             // 00000000770C: 863C3CFF FFFEFFFF
	s_and_b32 s61, 0xfffeffff, s61                             // 000000007714: 863D3DFF FFFEFFFF
	v_cndmask_b32_e64 v73, v73, v178, s[60:61]                 // 00000000771C: D1000049 00F36549
	s_lshl_b32 s60, s60, 1                                     // 000000007724: 8E3C813C
	s_lshl_b32 s61, s61, 1                                     // 000000007728: 8E3D813D
	s_and_b32 s60, 0xfffeffff, s60                             // 00000000772C: 863C3CFF FFFEFFFF
	s_and_b32 s61, 0xfffeffff, s61                             // 000000007734: 863D3DFF FFFEFFFF
	v_cndmask_b32_e64 v74, v74, v178, s[60:61]                 // 00000000773C: D100004A 00F3654A
	s_lshl_b32 s60, s60, 1                                     // 000000007744: 8E3C813C
	s_lshl_b32 s61, s61, 1                                     // 000000007748: 8E3D813D
	s_and_b32 s60, 0xfffeffff, s60                             // 00000000774C: 863C3CFF FFFEFFFF
	s_and_b32 s61, 0xfffeffff, s61                             // 000000007754: 863D3DFF FFFEFFFF
	v_cndmask_b32_e64 v75, v75, v178, s[60:61]                 // 00000000775C: D100004B 00F3654B
	s_branch label_0E5F                                        // 000000007764: BF820005

0000000000007768 <label_0E5A>:
	v_mov_b32_e32 v72, v178                                    // 000000007768: 7E9003B2
	v_mov_b32_e32 v73, v178                                    // 00000000776C: 7E9203B2
	v_mov_b32_e32 v74, v178                                    // 000000007770: 7E9403B2
	v_mov_b32_e32 v75, v178                                    // 000000007774: 7E9603B2
	s_branch label_0E5F                                        // 000000007778: BF820000

000000000000777c <label_0E5F>:
	s_addk_i32 s74, 0x1                                        // 00000000777C: B74A0001
	s_waitcnt lgkmcnt(8)                                       // 000000007780: BF8CC87F
	s_barrier                                                  // 000000007784: BF8A0000
	v_mfma_f32_16x16x16_f16 v[76:79], v[108:109], a[72:73], 0  // 000000007788: D3CD004C 1202916C
	v_fma_f32 v52, v52, s57, -v140                             // 000000007790: D1CB0034 86307334
	v_fma_f32 v53, v53, s57, -v141                             // 000000007798: D1CB0035 86347335
	v_fma_f32 v54, v54, s57, -v142                             // 0000000077A0: D1CB0036 86387336
	v_fma_f32 v55, v55, s57, -v143                             // 0000000077A8: D1CB0037 863C7337
	v_fma_f32 v56, v56, s57, -v140                             // 0000000077B0: D1CB0038 86307338
	v_fma_f32 v57, v57, s57, -v141                             // 0000000077B8: D1CB0039 86347339
	v_mfma_f32_16x16x16_f16 v[76:79], v[110:111], a[74:75], v[76:79]// 0000000077C0: D3CD004C 1532956E
	ds_read_b128 a[96:99], v14 offset:4352                     // 0000000077C8: DBFE1100 6000000E
	ds_read_b128 a[100:103], v14 offset:4864                   // 0000000077D0: DBFE1300 6400000E
	v_mfma_f32_16x16x16_f16 v[76:79], v[112:113], a[76:77], v[76:79]// 0000000077D8: D3CD004C 15329970
	v_fma_f32 v58, v58, s57, -v142                             // 0000000077E0: D1CB003A 8638733A
	v_fma_f32 v59, v59, s57, -v143                             // 0000000077E8: D1CB003B 863C733B
	v_fma_f32 v60, v60, s57, -v140                             // 0000000077F0: D1CB003C 8630733C
	v_fma_f32 v61, v61, s57, -v141                             // 0000000077F8: D1CB003D 8634733D
	v_fma_f32 v62, v62, s57, -v142                             // 000000007800: D1CB003E 8638733E
	v_fma_f32 v63, v63, s57, -v143                             // 000000007808: D1CB003F 863C733F
	v_mfma_f32_16x16x16_f16 v[76:79], v[114:115], a[78:79], v[76:79]// 000000007810: D3CD004C 15329D72
	v_fma_f32 v64, v64, s57, -v144                             // 000000007818: D1CB0040 86407340
	v_fma_f32 v65, v65, s57, -v145                             // 000000007820: D1CB0041 86447341
	v_fma_f32 v66, v66, s57, -v146                             // 000000007828: D1CB0042 86487342
	v_fma_f32 v67, v67, s57, -v147                             // 000000007830: D1CB0043 864C7343
	v_fma_f32 v68, v68, s57, -v144                             // 000000007838: D1CB0044 86407344
	v_fma_f32 v69, v69, s57, -v145                             // 000000007840: D1CB0045 86447345
	v_mfma_f32_16x16x16_f16 v[80:83], v[108:109], a[80:81], 0  // 000000007848: D3CD0050 1202A16C
	v_fma_f32 v70, v70, s57, -v146                             // 000000007850: D1CB0046 86487346
	v_fma_f32 v71, v71, s57, -v147                             // 000000007858: D1CB0047 864C7347
	v_fma_f32 v72, v72, s57, -v144                             // 000000007860: D1CB0048 86407348
	v_fma_f32 v73, v73, s57, -v145                             // 000000007868: D1CB0049 86447349
	v_fma_f32 v74, v74, s57, -v146                             // 000000007870: D1CB004A 8648734A
	v_fma_f32 v75, v75, s57, -v147                             // 000000007878: D1CB004B 864C734B
	v_mfma_f32_16x16x16_f16 v[80:83], v[110:111], a[82:83], v[80:83]// 000000007880: D3CD0050 1542A56E
	ds_read_b128 a[104:107], v14 offset:6528                   // 000000007888: DBFE1980 6800000E
	ds_read_b128 a[108:111], v14 offset:7040                   // 000000007890: DBFE1B80 6C00000E
	v_mfma_f32_16x16x16_f16 v[80:83], v[112:113], a[84:85], v[80:83]// 000000007898: D3CD0050 1542A970
	v_exp_f32_e32 v52, v52                                     // 0000000078A0: 7E684134
	v_exp_f32_e32 v53, v53                                     // 0000000078A4: 7E6A4135
	v_mfma_f32_16x16x16_f16 v[80:83], v[114:115], a[86:87], v[80:83]// 0000000078A8: D3CD0050 1542AD72
	v_exp_f32_e32 v54, v54                                     // 0000000078B0: 7E6C4136
	v_exp_f32_e32 v55, v55                                     // 0000000078B4: 7E6E4137
	v_mfma_f32_16x16x16_f16 v[84:87], v[108:109], a[88:89], 0  // 0000000078B8: D3CD0054 1202B16C
	v_exp_f32_e32 v56, v56                                     // 0000000078C0: 7E704138
	v_exp_f32_e32 v57, v57                                     // 0000000078C4: 7E724139
	v_mfma_f32_16x16x16_f16 v[84:87], v[110:111], a[90:91], v[84:87]// 0000000078C8: D3CD0054 1552B56E
	ds_read_b32 v156, v21 offset:31232                         // 0000000078D0: D86C7A00 9C000015
	ds_read_b32 v157, v21 offset:31248                         // 0000000078D8: D86C7A10 9D000015
	v_mfma_f32_16x16x16_f16 v[84:87], v[112:113], a[92:93], v[84:87]// 0000000078E0: D3CD0054 1552B970
	v_exp_f32_e32 v58, v58                                     // 0000000078E8: 7E74413A
	v_exp_f32_e32 v59, v59                                     // 0000000078EC: 7E76413B
	v_mfma_f32_16x16x16_f16 v[84:87], v[114:115], a[94:95], v[84:87]// 0000000078F0: D3CD0054 1552BD72
	ds_read_b32 v158, v21 offset:31264                         // 0000000078F8: D86C7A20 9E000015
	ds_read_b32 v159, v21 offset:31280                         // 000000007900: D86C7A30 9F000015
	v_mfma_f32_16x16x16_f16 v[88:91], v[116:117], a[72:73], 0  // 000000007908: D3CD0058 12029174
	v_exp_f32_e32 v60, v60                                     // 000000007910: 7E78413C
	v_exp_f32_e32 v61, v61                                     // 000000007914: 7E7A413D
	v_mfma_f32_16x16x16_f16 v[88:91], v[118:119], a[74:75], v[88:91]// 000000007918: D3CD0058 15629576
	v_exp_f32_e32 v62, v62                                     // 000000007920: 7E7C413E
	v_exp_f32_e32 v63, v63                                     // 000000007924: 7E7E413F
	v_mfma_f32_16x16x16_f16 v[88:91], v[120:121], a[76:77], v[88:91]// 000000007928: D3CD0058 15629978
	v_exp_f32_e32 v64, v64                                     // 000000007930: 7E804140
	v_exp_f32_e32 v65, v65                                     // 000000007934: 7E824141
	v_mfma_f32_16x16x16_f16 v[88:91], v[122:123], a[78:79], v[88:91]// 000000007938: D3CD0058 15629D7A
	v_exp_f32_e32 v66, v66                                     // 000000007940: 7E844142
	v_exp_f32_e32 v67, v67                                     // 000000007944: 7E864143
	v_mfma_f32_16x16x16_f16 v[92:95], v[116:117], a[80:81], 0  // 000000007948: D3CD005C 1202A174
	v_exp_f32_e32 v68, v68                                     // 000000007950: 7E884144
	v_exp_f32_e32 v69, v69                                     // 000000007954: 7E8A4145
	v_mfma_f32_16x16x16_f16 v[92:95], v[118:119], a[82:83], v[92:95]// 000000007958: D3CD005C 1572A576
	v_exp_f32_e32 v70, v70                                     // 000000007960: 7E8C4146
	v_exp_f32_e32 v71, v71                                     // 000000007964: 7E8E4147
	v_mfma_f32_16x16x16_f16 v[92:95], v[120:121], a[84:85], v[92:95]// 000000007968: D3CD005C 1572A978
	v_exp_f32_e32 v72, v72                                     // 000000007970: 7E904148
	v_exp_f32_e32 v73, v73                                     // 000000007974: 7E924149
	v_mfma_f32_16x16x16_f16 v[92:95], v[122:123], a[86:87], v[92:95]// 000000007978: D3CD005C 1572AD7A
	v_exp_f32_e32 v74, v74                                     // 000000007980: 7E94414A
	v_exp_f32_e32 v75, v75                                     // 000000007984: 7E96414B
	v_mfma_f32_16x16x16_f16 v[96:99], v[116:117], a[88:89], 0  // 000000007988: D3CD0060 1202B174
	v_cvt_pkrtz_f16_f32 v164, v52, v53                         // 000000007990: D29600A4 00026B34
	v_cvt_pkrtz_f16_f32 v165, v54, v55                         // 000000007998: D29600A5 00026F36
	v_cvt_pkrtz_f16_f32 v166, v56, v57                         // 0000000079A0: D29600A6 00027338
	v_cvt_pkrtz_f16_f32 v167, v58, v59                         // 0000000079A8: D29600A7 0002773A
	v_cvt_pkrtz_f16_f32 v168, v60, v61                         // 0000000079B0: D29600A8 00027B3C
	v_cvt_pkrtz_f16_f32 v169, v62, v63                         // 0000000079B8: D29600A9 00027F3E
	v_mfma_f32_16x16x16_f16 v[96:99], v[118:119], a[90:91], v[96:99]// 0000000079C0: D3CD0060 1582B576
	v_cvt_pkrtz_f16_f32 v170, v64, v65                         // 0000000079C8: D29600AA 00028340
	v_cvt_pkrtz_f16_f32 v171, v66, v67                         // 0000000079D0: D29600AB 00028742
	v_cvt_pkrtz_f16_f32 v172, v68, v69                         // 0000000079D8: D29600AC 00028B44
	v_cvt_pkrtz_f16_f32 v173, v70, v71                         // 0000000079E0: D29600AD 00028F46
	v_cvt_pkrtz_f16_f32 v174, v72, v73                         // 0000000079E8: D29600AE 00029348
	v_cvt_pkrtz_f16_f32 v175, v74, v75                         // 0000000079F0: D29600AF 0002974A
	v_mfma_f32_16x16x16_f16 v[96:99], v[120:121], a[92:93], v[96:99]// 0000000079F8: D3CD0060 1582B978
	s_add_u32 s32, s66, s32                                    // 000000007A00: 80202042
	s_addc_u32 s33, 0, s33                                     // 000000007A04: 82212180
	v_mfma_f32_16x16x16_f16 v[96:99], v[122:123], a[94:95], v[96:99]// 000000007A08: D3CD0060 1582BD7A
	s_waitcnt lgkmcnt(0)                                       // 000000007A10: BF8CC07F
	s_barrier                                                  // 000000007A14: BF8A0000
	v_mfma_f32_16x16x16_f16 v[180:183], v[124:125], v[164:165], v[180:183]// 000000007A18: D3CD00B4 06D3497C
	v_subrev_f32_dpp v76, v176, v76 quad_perm:[0,0,0,0] row_mask:0xf bank_mask:0xf// 000000007A20: 069898FA FF0000B0
	v_subrev_f32_dpp v77, v176, v77 quad_perm:[1,1,1,1] row_mask:0xf bank_mask:0xf// 000000007A28: 069A9AFA FF0055B0
	v_subrev_f32_dpp v78, v176, v78 quad_perm:[2,2,2,2] row_mask:0xf bank_mask:0xf// 000000007A30: 069C9CFA FF00AAB0
	v_subrev_f32_dpp v79, v176, v79 quad_perm:[3,3,3,3] row_mask:0xf bank_mask:0xf// 000000007A38: 069E9EFA FF00FFB0
	v_subrev_f32_dpp v80, v176, v80 quad_perm:[0,0,0,0] row_mask:0xf bank_mask:0xf// 000000007A40: 06A0A0FA FF0000B0
	v_subrev_f32_dpp v81, v176, v81 quad_perm:[1,1,1,1] row_mask:0xf bank_mask:0xf// 000000007A48: 06A2A2FA FF0055B0
	v_mfma_f32_16x16x16_f16 v[184:187], v[126:127], v[164:165], v[184:187]// 000000007A50: D3CD00B8 06E3497E
	v_subrev_f32_dpp v82, v176, v82 quad_perm:[2,2,2,2] row_mask:0xf bank_mask:0xf// 000000007A58: 06A4A4FA FF00AAB0
	v_subrev_f32_dpp v83, v176, v83 quad_perm:[3,3,3,3] row_mask:0xf bank_mask:0xf// 000000007A60: 06A6A6FA FF00FFB0
	v_subrev_f32_dpp v84, v176, v84 quad_perm:[0,0,0,0] row_mask:0xf bank_mask:0xf// 000000007A68: 06A8A8FA FF0000B0
	v_subrev_f32_dpp v85, v176, v85 quad_perm:[1,1,1,1] row_mask:0xf bank_mask:0xf// 000000007A70: 06AAAAFA FF0055B0
	v_subrev_f32_dpp v86, v176, v86 quad_perm:[2,2,2,2] row_mask:0xf bank_mask:0xf// 000000007A78: 06ACACFA FF00AAB0
	v_subrev_f32_dpp v87, v176, v87 quad_perm:[3,3,3,3] row_mask:0xf bank_mask:0xf// 000000007A80: 06AEAEFA FF00FFB0
	v_mfma_f32_16x16x16_f16 v[188:191], v[128:129], v[164:165], v[188:191]// 000000007A88: D3CD00BC 06F34980
	v_mul_f32_e32 v76, v52, v76                                // 000000007A90: 0A989934
	v_mul_f32_e32 v77, v53, v77                                // 000000007A94: 0A9A9B35
	v_mul_f32_e32 v78, v54, v78                                // 000000007A98: 0A9C9D36
	v_mul_f32_e32 v79, v55, v79                                // 000000007A9C: 0A9E9F37
	v_mul_f32_e32 v80, v56, v80                                // 000000007AA0: 0AA0A138
	v_mul_f32_e32 v81, v57, v81                                // 000000007AA4: 0AA2A339
	v_mfma_f32_16x16x16_f16 v[192:195], v[130:131], v[164:165], v[192:195]// 000000007AA8: D3CD00C0 07034982
	v_mul_f32_e32 v82, v58, v82                                // 000000007AB0: 0AA4A53A
	v_mul_f32_e32 v83, v59, v83                                // 000000007AB4: 0AA6A73B
	v_mul_f32_e32 v84, v60, v84                                // 000000007AB8: 0AA8A93C
	v_mul_f32_e32 v85, v61, v85                                // 000000007ABC: 0AAAAB3D
	v_mul_f32_e32 v86, v62, v86                                // 000000007AC0: 0AACAD3E
	v_mul_f32_e32 v87, v63, v87                                // 000000007AC4: 0AAEAF3F
	v_mfma_f32_16x16x16_f16 v[196:199], v[124:125], v[166:167], v[196:199]// 000000007AC8: D3CD00C4 07134D7C
	v_cvt_pkrtz_f16_f32 v76, v76, v77                          // 000000007AD0: D296004C 00029B4C
	v_cvt_pkrtz_f16_f32 v77, v78, v79                          // 000000007AD8: D296004D 00029F4E
	v_cvt_pkrtz_f16_f32 v78, v80, v81                          // 000000007AE0: D296004E 0002A350
	v_cvt_pkrtz_f16_f32 v79, v82, v83                          // 000000007AE8: D296004F 0002A752
	v_cvt_pkrtz_f16_f32 v80, v84, v85                          // 000000007AF0: D2960050 0002AB54
	v_cvt_pkrtz_f16_f32 v81, v86, v87                          // 000000007AF8: D2960051 0002AF56
	v_mfma_f32_16x16x16_f16 v[200:203], v[126:127], v[166:167], v[200:203]// 000000007B00: D3CD00C8 07234D7E
	v_mov_b32_dpp v18, v76 quad_perm:[1,0,3,2] row_mask:0xf bank_mask:0xf// 000000007B08: 7E2402FA FF00B14C
	v_perm_b32 v52, v18, v76, v17                              // 000000007B10: D1ED0034 04469912
	v_mov_b32_dpp v18, v77 quad_perm:[1,0,3,2] row_mask:0xf bank_mask:0xf// 000000007B18: 7E2402FA FF00B14D
	v_perm_b32 v53, v18, v77, v17                              // 000000007B20: D1ED0035 04469B12
	v_mov_b32_dpp v18, v78 quad_perm:[1,0,3,2] row_mask:0xf bank_mask:0xf// 000000007B28: 7E2402FA FF00B14E
	v_perm_b32 v54, v18, v78, v17                              // 000000007B30: D1ED0036 04469D12
	v_mfma_f32_16x16x16_f16 v[204:207], v[128:129], v[166:167], v[204:207]// 000000007B38: D3CD00CC 07334D80
	ds_write_b32 v20, v52 offset:17408                         // 000000007B40: D81A4400 00003414
	ds_write_b32 v20, v53 offset:17952                         // 000000007B48: D81A4620 00003514
	v_mfma_f32_16x16x16_f16 v[208:211], v[130:131], v[166:167], v[208:211]// 000000007B50: D3CD00D0 07434D82
	v_mov_b32_dpp v18, v79 quad_perm:[1,0,3,2] row_mask:0xf bank_mask:0xf// 000000007B58: 7E2402FA FF00B14F
	v_perm_b32 v55, v18, v79, v17                              // 000000007B60: D1ED0037 04469F12
	v_mov_b32_dpp v18, v80 quad_perm:[1,0,3,2] row_mask:0xf bank_mask:0xf// 000000007B68: 7E2402FA FF00B150
	v_perm_b32 v56, v18, v80, v17                              // 000000007B70: D1ED0038 0446A112
	v_mov_b32_dpp v18, v81 quad_perm:[1,0,3,2] row_mask:0xf bank_mask:0xf// 000000007B78: 7E2402FA FF00B151
	v_perm_b32 v57, v18, v81, v17                              // 000000007B80: D1ED0039 0446A312
	v_mfma_f32_16x16x16_f16 v[212:215], v[124:125], v[168:169], v[212:215]// 000000007B88: D3CD00D4 0753517C
	ds_write_b32 v20, v54 offset:19712                         // 000000007B90: D81A4D00 00003614
	ds_write_b32 v20, v55 offset:20256                         // 000000007B98: D81A4F20 00003714
	v_mfma_f32_16x16x16_f16 v[216:219], v[126:127], v[168:169], v[216:219]// 000000007BA0: D3CD00D8 0763517E
	v_subrev_f32_dpp v88, v177, v88 quad_perm:[0,0,0,0] row_mask:0xf bank_mask:0xf// 000000007BA8: 06B0B0FA FF0000B1
	v_subrev_f32_dpp v89, v177, v89 quad_perm:[1,1,1,1] row_mask:0xf bank_mask:0xf// 000000007BB0: 06B2B2FA FF0055B1
	v_subrev_f32_dpp v90, v177, v90 quad_perm:[2,2,2,2] row_mask:0xf bank_mask:0xf// 000000007BB8: 06B4B4FA FF00AAB1
	v_subrev_f32_dpp v91, v177, v91 quad_perm:[3,3,3,3] row_mask:0xf bank_mask:0xf// 000000007BC0: 06B6B6FA FF00FFB1
	v_subrev_f32_dpp v92, v177, v92 quad_perm:[0,0,0,0] row_mask:0xf bank_mask:0xf// 000000007BC8: 06B8B8FA FF0000B1
	v_subrev_f32_dpp v93, v177, v93 quad_perm:[1,1,1,1] row_mask:0xf bank_mask:0xf// 000000007BD0: 06BABAFA FF0055B1
	v_mfma_f32_16x16x16_f16 v[220:223], v[128:129], v[168:169], v[220:223]// 000000007BD8: D3CD00DC 07735180
	ds_write_b32 v20, v56 offset:22016                         // 000000007BE0: D81A5600 00003814
	ds_write_b32 v20, v57 offset:22560                         // 000000007BE8: D81A5820 00003914
	v_mfma_f32_16x16x16_f16 v[224:227], v[130:131], v[168:169], v[224:227]// 000000007BF0: D3CD00E0 07835182
	v_subrev_f32_dpp v94, v177, v94 quad_perm:[2,2,2,2] row_mask:0xf bank_mask:0xf// 000000007BF8: 06BCBCFA FF00AAB1
	v_subrev_f32_dpp v95, v177, v95 quad_perm:[3,3,3,3] row_mask:0xf bank_mask:0xf// 000000007C00: 06BEBEFA FF00FFB1
	v_subrev_f32_dpp v96, v177, v96 quad_perm:[0,0,0,0] row_mask:0xf bank_mask:0xf// 000000007C08: 06C0C0FA FF0000B1
	v_subrev_f32_dpp v97, v177, v97 quad_perm:[1,1,1,1] row_mask:0xf bank_mask:0xf// 000000007C10: 06C2C2FA FF0055B1
	v_subrev_f32_dpp v98, v177, v98 quad_perm:[2,2,2,2] row_mask:0xf bank_mask:0xf// 000000007C18: 06C4C4FA FF00AAB1
	v_subrev_f32_dpp v99, v177, v99 quad_perm:[3,3,3,3] row_mask:0xf bank_mask:0xf// 000000007C20: 06C6C6FA FF00FFB1
	v_mfma_f32_16x16x16_f16 v[180:183], v[132:133], v[170:171], v[180:183]// 000000007C28: D3CD00B4 06D35584
	v_mul_f32_e32 v88, v64, v88                                // 000000007C30: 0AB0B140
	v_mul_f32_e32 v89, v65, v89                                // 000000007C34: 0AB2B341
	v_mul_f32_e32 v90, v66, v90                                // 000000007C38: 0AB4B542
	v_mul_f32_e32 v91, v67, v91                                // 000000007C3C: 0AB6B743
	v_mul_f32_e32 v92, v68, v92                                // 000000007C40: 0AB8B944
	v_mul_f32_e32 v93, v69, v93                                // 000000007C44: 0ABABB45
	v_mfma_f32_16x16x16_f16 v[184:187], v[134:135], v[170:171], v[184:187]// 000000007C48: D3CD00B8 06E35586
	v_mul_f32_e32 v94, v70, v94                                // 000000007C50: 0ABCBD46
	v_mul_f32_e32 v95, v71, v95                                // 000000007C54: 0ABEBF47
	v_mul_f32_e32 v96, v72, v96                                // 000000007C58: 0AC0C148
	v_mul_f32_e32 v97, v73, v97                                // 000000007C5C: 0AC2C349
	v_mul_f32_e32 v98, v74, v98                                // 000000007C60: 0AC4C54A
	v_mul_f32_e32 v99, v75, v99                                // 000000007C64: 0AC6C74B
	v_mfma_f32_16x16x16_f16 v[188:191], v[136:137], v[170:171], v[188:191]// 000000007C68: D3CD00BC 06F35588
	v_cvt_pkrtz_f16_f32 v82, v88, v89                          // 000000007C70: D2960052 0002B358
	v_cvt_pkrtz_f16_f32 v83, v90, v91                          // 000000007C78: D2960053 0002B75A
	v_cvt_pkrtz_f16_f32 v84, v92, v93                          // 000000007C80: D2960054 0002BB5C
	v_cvt_pkrtz_f16_f32 v85, v94, v95                          // 000000007C88: D2960055 0002BF5E
	v_cvt_pkrtz_f16_f32 v86, v96, v97                          // 000000007C90: D2960056 0002C360
	v_cvt_pkrtz_f16_f32 v87, v98, v99                          // 000000007C98: D2960057 0002C762
	v_mfma_f32_16x16x16_f16 v[192:195], v[138:139], v[170:171], v[192:195]// 000000007CA0: D3CD00C0 0703558A
	v_mov_b32_dpp v18, v82 quad_perm:[1,0,3,2] row_mask:0xf bank_mask:0xf// 000000007CA8: 7E2402FA FF00B152
	v_perm_b32 v58, v18, v82, v17                              // 000000007CB0: D1ED003A 0446A512
	v_mov_b32_dpp v18, v83 quad_perm:[1,0,3,2] row_mask:0xf bank_mask:0xf// 000000007CB8: 7E2402FA FF00B153
	v_perm_b32 v59, v18, v83, v17                              // 000000007CC0: D1ED003B 0446A712
	v_mov_b32_dpp v18, v84 quad_perm:[1,0,3,2] row_mask:0xf bank_mask:0xf// 000000007CC8: 7E2402FA FF00B154
	v_perm_b32 v60, v18, v84, v17                              // 000000007CD0: D1ED003C 0446A912
	v_mfma_f32_16x16x16_f16 v[196:199], v[132:133], v[172:173], v[196:199]// 000000007CD8: D3CD00C4 07135984
	ds_write_b32 v20, v58 offset:24320                         // 000000007CE0: D81A5F00 00003A14
	ds_write_b32 v20, v59 offset:24864                         // 000000007CE8: D81A6120 00003B14
	v_mfma_f32_16x16x16_f16 v[200:203], v[134:135], v[172:173], v[200:203]// 000000007CF0: D3CD00C8 07235986
	v_mov_b32_dpp v18, v85 quad_perm:[1,0,3,2] row_mask:0xf bank_mask:0xf// 000000007CF8: 7E2402FA FF00B155
	v_perm_b32 v61, v18, v85, v17                              // 000000007D00: D1ED003D 0446AB12
	v_mov_b32_dpp v18, v86 quad_perm:[1,0,3,2] row_mask:0xf bank_mask:0xf// 000000007D08: 7E2402FA FF00B156
	v_perm_b32 v62, v18, v86, v17                              // 000000007D10: D1ED003E 0446AD12
	v_mov_b32_dpp v18, v87 quad_perm:[1,0,3,2] row_mask:0xf bank_mask:0xf// 000000007D18: 7E2402FA FF00B157
	v_perm_b32 v63, v18, v87, v17                              // 000000007D20: D1ED003F 0446AF12
	v_mfma_f32_16x16x16_f16 v[204:207], v[136:137], v[172:173], v[204:207]// 000000007D28: D3CD00CC 07335988
	ds_write_b32 v20, v60 offset:26624                         // 000000007D30: D81A6800 00003C14
	ds_write_b32 v20, v61 offset:27168                         // 000000007D38: D81A6A20 00003D14
	ds_write_b32 v20, v62 offset:28928                         // 000000007D40: D81A7100 00003E14
	ds_write_b32 v20, v63 offset:29472                         // 000000007D48: D81A7320 00003F14
	v_mfma_f32_16x16x16_f16 v[208:211], v[138:139], v[172:173], v[208:211]// 000000007D50: D3CD00D0 0743598A
	v_mfma_f32_16x16x16_f16 v[212:215], v[132:133], v[174:175], v[212:215]// 000000007D58: D3CD00D4 07535D84
	ds_write_b32 v15, v100 offset:4352                         // 000000007D60: D81A1100 0000640F
	ds_write_b32 v15, v101 offset:5408                         // 000000007D68: D81A1520 0000650F
	v_mfma_f32_16x16x16_f16 v[216:219], v[134:135], v[174:175], v[216:219]// 000000007D70: D3CD00D8 07635D86
	v_mfma_f32_16x16x16_f16 v[220:223], v[136:137], v[174:175], v[220:223]// 000000007D78: D3CD00DC 07735D88
	ds_write_b32 v15, v102 offset:6528                         // 000000007D80: D81A1980 0000660F
	ds_write_b32 v15, v103 offset:7584                         // 000000007D88: D81A1DA0 0000670F
	v_mfma_f32_16x16x16_f16 v[224:227], v[138:139], v[174:175], v[224:227]// 000000007D90: D3CD00E0 07835D8A
	s_nop 0                                                    // 000000007D98: BF800000
	s_nop 0                                                    // 000000007D9C: BF800000
	s_nop 0                                                    // 000000007DA0: BF800000
	s_barrier                                                  // 000000007DA4: BF8A0000
	v_mfma_f32_16x16x16_f16 a[112:115], a[96:97], v[76:77], a[112:115]// 000000007DA8: D3CD8070 0DC29960
	ds_read_b32 v140, v23 offset:36096                         // 000000007DB0: D86C8D00 8C000017
	ds_read_b32 v144, v23 offset:36160                         // 000000007DB8: D86C8D40 90000017
	ds_read_b32 v176, v23 offset:36352                         // 000000007DC0: D86C8E00 B0000017
	ds_read_b32 v177, v23 offset:36416                         // 000000007DC8: D86C8E40 B1000017
	v_mfma_f32_16x16x16_f16 a[116:119], a[98:99], v[76:77], a[116:119]// 000000007DD0: D3CD8074 0DD29962
	buffer_atomic_pk_add_f16 v156, v7, s[32:35], 0 idxen       // 000000007DD8: E1382000 80089C07
	v_mfma_f32_16x16x16_f16 a[120:123], a[100:101], v[76:77], a[120:123]// 000000007DE0: D3CD8078 0DE29964
	s_waitcnt lgkmcnt(8)                                       // 000000007DE8: BF8CC87F
	s_barrier                                                  // 000000007DEC: BF8A0000
	v_mfma_f32_16x16x16_f16 a[124:127], a[102:103], v[76:77], a[124:127]// 000000007DF0: D3CD807C 0DF29966
	v_mfma_f32_16x16x16_f16 a[128:131], a[96:97], v[78:79], a[128:131]// 000000007DF8: D3CD8080 0E029D60
	ds_read_b128 v[52:55], v19 offset:17408                    // 000000007E00: D9FE4400 34000013
	v_mfma_f32_16x16x16_f16 a[132:135], a[98:99], v[78:79], a[132:135]// 000000007E08: D3CD8084 0E129D62
	v_mfma_f32_16x16x16_f16 a[136:139], a[100:101], v[78:79], a[136:139]// 000000007E10: D3CD8088 0E229D64
	ds_read_b128 v[56:59], v19 offset:18560                    // 000000007E18: D9FE4880 38000013
	v_mfma_f32_16x16x16_f16 a[140:143], a[102:103], v[78:79], a[140:143]// 000000007E20: D3CD808C 0E329D66
	buffer_atomic_pk_add_f16 v157, v8, s[32:35], 0 idxen       // 000000007E28: E1382000 80089D08
	v_mfma_f32_16x16x16_f16 a[144:147], a[96:97], v[80:81], a[144:147]// 000000007E30: D3CD8090 0E42A160
	ds_read_b128 v[60:63], v19 offset:19712                    // 000000007E38: D9FE4D00 3C000013
	v_mfma_f32_16x16x16_f16 a[148:151], a[98:99], v[80:81], a[148:151]// 000000007E40: D3CD8094 0E52A162
	v_mfma_f32_16x16x16_f16 a[152:155], a[100:101], v[80:81], a[152:155]// 000000007E48: D3CD8098 0E62A164
	ds_read_b128 v[64:67], v19 offset:20864                    // 000000007E50: D9FE5180 40000013
	v_mfma_f32_16x16x16_f16 a[156:159], a[102:103], v[80:81], a[156:159]// 000000007E58: D3CD809C 0E72A166
	v_mfma_f32_16x16x16_f16 a[112:115], a[104:105], v[82:83], a[112:115]// 000000007E60: D3CD8070 0DC2A568
	ds_read_b128 v[68:71], v19 offset:22016                    // 000000007E68: D9FE5600 44000013
	v_mfma_f32_16x16x16_f16 a[116:119], a[106:107], v[82:83], a[116:119]// 000000007E70: D3CD8074 0DD2A56A
	buffer_atomic_pk_add_f16 v158, v9, s[32:35], 0 idxen       // 000000007E78: E1382000 80089E09
	v_mfma_f32_16x16x16_f16 a[120:123], a[108:109], v[82:83], a[120:123]// 000000007E80: D3CD8078 0DE2A56C
	ds_read_b128 v[72:75], v19 offset:23168                    // 000000007E88: D9FE5A80 48000013
	v_mfma_f32_16x16x16_f16 a[124:127], a[110:111], v[82:83], a[124:127]// 000000007E90: D3CD807C 0DF2A56E
	v_mfma_f32_16x16x16_f16 a[128:131], a[104:105], v[84:85], a[128:131]// 000000007E98: D3CD8080 0E02A968
	ds_write_b32 v15, v104 offset:13056                        // 000000007EA0: D81A3300 0000680F
	v_mfma_f32_16x16x16_f16 a[132:135], a[106:107], v[84:85], a[132:135]// 000000007EA8: D3CD8084 0E12A96A
	v_mfma_f32_16x16x16_f16 a[136:139], a[108:109], v[84:85], a[136:139]// 000000007EB0: D3CD8088 0E22A96C
	ds_write_b32 v15, v105 offset:14112                        // 000000007EB8: D81A3720 0000690F
	v_mfma_f32_16x16x16_f16 a[140:143], a[110:111], v[84:85], a[140:143]// 000000007EC0: D3CD808C 0E32A96E
	buffer_atomic_pk_add_f16 v159, v10, s[32:35], 0 idxen      // 000000007EC8: E1382000 80089F0A
	v_mfma_f32_16x16x16_f16 a[144:147], a[104:105], v[86:87], a[144:147]// 000000007ED0: D3CD8090 0E42AD68
	ds_write_b32 v15, v106 offset:15232                        // 000000007ED8: D81A3B80 00006A0F
	v_mfma_f32_16x16x16_f16 a[148:151], a[106:107], v[86:87], a[148:151]// 000000007EE0: D3CD8094 0E52AD6A
	v_mfma_f32_16x16x16_f16 a[152:155], a[108:109], v[86:87], a[152:155]// 000000007EE8: D3CD8098 0E62AD6C
	ds_write_b32 v15, v107 offset:16288                        // 000000007EF0: D81A3FA0 00006B0F
	v_mfma_f32_16x16x16_f16 a[156:159], a[110:111], v[86:87], a[156:159]// 000000007EF8: D3CD809C 0E72AD6E
	s_waitcnt vmcnt(4) lgkmcnt(4)                              // 000000007F00: BF8C0474
	s_barrier                                                  // 000000007F04: BF8A0000
	v_mfma_f32_16x16x16_f16 v[148:151], a[24:25], v[52:53], 0  // 000000007F08: D3CD0094 0A026918
	ds_read_b128 a[96:99], v12                                 // 000000007F10: DBFE0000 6000000C
	buffer_load_dword v40, v1, s[8:11], 0 idxen                // 000000007F18: E0502000 80022801
	v_mfma_f32_16x16x16_f16 v[148:151], a[28:29], v[54:55], v[148:151]// 000000007F20: D3CD0094 0E526D1C
	v_mul_f32_e32 v140, s49, v140                              // 000000007F28: 0B191831
	v_mul_f32_e32 v144, s49, v144                              // 000000007F2C: 0B212031
	s_nop 0                                                    // 000000007F30: BF800000
	v_mfma_f32_16x16x16_f16 v[148:151], a[32:33], v[56:57], v[148:151]// 000000007F34: D3CD0094 0E527120
	ds_read_b128 a[100:103], v12 offset:512                    // 000000007F3C: DBFE0200 6400000C
	buffer_load_dword v41, v2, s[8:11], 0 idxen                // 000000007F44: E0502000 80022902
	v_mfma_f32_16x16x16_f16 v[148:151], a[36:37], v[58:59], v[148:151]// 000000007F4C: D3CD0094 0E527524
	v_mfma_f32_16x16x16_f16 v[148:151], a[40:41], v[60:61], v[148:151]// 000000007F54: D3CD0094 0E527928
	ds_read_b128 a[104:107], v12 offset:2176                   // 000000007F5C: DBFE0880 6800000C
	buffer_load_dword v42, v3, s[8:11], 0 idxen                // 000000007F64: E0502000 80022A03
	v_mfma_f32_16x16x16_f16 v[148:151], a[44:45], v[62:63], v[148:151]// 000000007F6C: D3CD0094 0E527D2C
	v_perm_b32 v100, v37, v36, s63                             // 000000007F74: D1ED0064 00FE4925
	v_perm_b32 v101, v37, v36, s64                             // 000000007F7C: D1ED0065 01024925
	v_mfma_f32_16x16x16_f16 v[148:151], a[48:49], v[64:65], v[148:151]// 000000007F84: D3CD0094 0E528130
	ds_read_b128 a[108:111], v12 offset:2688                   // 000000007F8C: DBFE0A80 6C00000C
	buffer_load_dword v43, v4, s[8:11], 0 idxen                // 000000007F94: E0502000 80022B04
	v_mfma_f32_16x16x16_f16 v[148:151], a[52:53], v[66:67], v[148:151]// 000000007F9C: D3CD0094 0E528534
	v_perm_b32 v102, v39, v38, s63                             // 000000007FA4: D1ED0066 00FE4D27
	v_perm_b32 v103, v39, v38, s64                             // 000000007FAC: D1ED0067 01024D27
	v_mfma_f32_16x16x16_f16 v[148:151], a[56:57], v[68:69], v[148:151]// 000000007FB4: D3CD0094 0E528938
	ds_read_b128 v[108:111], v12 offset:8704                   // 000000007FBC: D9FE2200 6C00000C
	buffer_load_dword v48, v1, s[20:23], 0 idxen               // 000000007FC4: E0502000 80053001
	v_mfma_f32_16x16x16_f16 v[148:151], a[60:61], v[70:71], v[148:151]// 000000007FCC: D3CD0094 0E528D3C
	v_perm_b32 v104, v45, v44, s63                             // 000000007FD4: D1ED0068 00FE592D
	v_perm_b32 v105, v45, v44, s64                             // 000000007FDC: D1ED0069 0102592D
	v_mfma_f32_16x16x16_f16 v[148:151], a[64:65], v[72:73], v[148:151]// 000000007FE4: D3CD0094 0E529140
	ds_read_b128 v[112:115], v12 offset:9216                   // 000000007FEC: D9FE2400 7000000C
	buffer_load_dword v49, v2, s[20:23], 0 idxen               // 000000007FF4: E0502000 80053102
	v_mfma_f32_16x16x16_f16 v[148:151], a[68:69], v[74:75], v[148:151]// 000000007FFC: D3CD0094 0E529544
	v_perm_b32 v106, v47, v46, s63                             // 000000008004: D1ED006A 00FE5D2F
	v_perm_b32 v107, v47, v46, s64                             // 00000000800C: D1ED006B 01025D2F
	v_mfma_f32_16x16x16_f16 v[152:155], a[26:27], v[52:53], 0  // 000000008014: D3CD0098 0A02691A
	ds_read_b128 v[116:119], v12 offset:10880                  // 00000000801C: D9FE2A80 7400000C
	buffer_load_dword v50, v3, s[20:23], 0 idxen               // 000000008024: E0502000 80053203
	v_mfma_f32_16x16x16_f16 v[152:155], a[30:31], v[54:55], v[152:155]// 00000000802C: D3CD0098 0E626D1E
	v_mov_b32_dpp v143, v140 quad_perm:[3,3,3,3] row_mask:0xf bank_mask:0xf// 000000008034: 7F1E02FA FF00FF8C
	v_mov_b32_dpp v142, v140 quad_perm:[2,2,2,2] row_mask:0xf bank_mask:0xf// 00000000803C: 7F1C02FA FF00AA8C
	v_mov_b32_dpp v141, v140 quad_perm:[1,1,1,1] row_mask:0xf bank_mask:0xf// 000000008044: 7F1A02FA FF00558C
	v_mov_b32_dpp v140, v140 quad_perm:[0,0,0,0] row_mask:0xf bank_mask:0xf// 00000000804C: 7F1802FA FF00008C
	v_mfma_f32_16x16x16_f16 v[152:155], a[34:35], v[56:57], v[152:155]// 000000008054: D3CD0098 0E627122
	ds_read_b128 v[120:123], v12 offset:11392                  // 00000000805C: D9FE2C80 7800000C
	buffer_load_dword v51, v4, s[20:23], 0 idxen               // 000000008064: E0502000 80053304
	v_mfma_f32_16x16x16_f16 v[152:155], a[38:39], v[58:59], v[152:155]// 00000000806C: D3CD0098 0E627526
	v_mov_b32_dpp v147, v144 quad_perm:[3,3,3,3] row_mask:0xf bank_mask:0xf// 000000008074: 7F2602FA FF00FF90
	v_mov_b32_dpp v146, v144 quad_perm:[2,2,2,2] row_mask:0xf bank_mask:0xf// 00000000807C: 7F2402FA FF00AA90
	v_mov_b32_dpp v145, v144 quad_perm:[1,1,1,1] row_mask:0xf bank_mask:0xf// 000000008084: 7F2202FA FF005590
	v_mov_b32_dpp v144, v144 quad_perm:[0,0,0,0] row_mask:0xf bank_mask:0xf// 00000000808C: 7F2002FA FF000090
	s_add_u32 s60, 0x80, s59                                   // 000000008094: 803C3BFF 00000080
	v_mfma_f32_16x16x16_f16 v[152:155], a[42:43], v[60:61], v[152:155]// 00000000809C: D3CD0098 0E62792A
	buffer_load_dword v11, s[24:27], 0 idxen lds               // 0000000080A4: E0512000 8006000B
	v_mfma_f32_16x16x16_f16 v[152:155], a[46:47], v[62:63], v[152:155]// 0000000080AC: D3CD0098 0E627D2E
	s_cmp_lt_u32 s60, s58                                      // 0000000080B4: BF0A3A3C
	s_cselect_b32 s68, s68, 0                                  // 0000000080B8: 85448044
	s_cselect_b32 s69, s69, 0                                  // 0000000080BC: 85458045
	v_mfma_f32_16x16x16_f16 v[152:155], a[50:51], v[64:65], v[152:155]// 0000000080C0: D3CD0098 0E628132
	s_add_u32 s8, s68, s8                                      // 0000000080C8: 80080844
	s_addc_u32 s9, 0, s9                                       // 0000000080CC: 82090980
	v_mfma_f32_16x16x16_f16 v[152:155], a[54:55], v[66:67], v[152:155]// 0000000080D0: D3CD0098 0E628536
	s_add_u32 s20, s68, s20                                    // 0000000080D8: 80141444
	s_addc_u32 s21, 0, s21                                     // 0000000080DC: 82151580
	v_mfma_f32_16x16x16_f16 v[152:155], a[58:59], v[68:69], v[152:155]// 0000000080E0: D3CD0098 0E62893A
	s_mov_b32 m0, s78                                          // 0000000080E8: BEFC004E
	v_add_u32_e32 v11, s69, v11                                // 0000000080EC: 68161645
	v_mfma_f32_16x16x16_f16 v[152:155], a[62:63], v[70:71], v[152:155]// 0000000080F0: D3CD0098 0E628D3E
	s_cmp_ge_u32 s59, s73                                      // 0000000080F8: BF09493B
	s_cselect_b32 s66, s67, s66                                // 0000000080FC: 85424243
	v_mfma_f32_16x16x16_f16 v[152:155], a[66:67], v[72:73], v[152:155]// 000000008100: D3CD0098 0E629142
	s_addk_i32 s59, 0x20                                       // 000000008108: B73B0020
	s_nop 0                                                    // 00000000810C: BF800000
	s_cmp_lt_i32 s59, s58                                      // 000000008110: BF043A3B
	v_mfma_f32_16x16x16_f16 v[152:155], a[70:71], v[74:75], v[152:155]// 000000008114: D3CD0098 0E629546
	s_cbranch_scc0 label_0D16                                  // 00000000811C: BF84FC4E
	s_waitcnt lgkmcnt(4)                                       // 000000008120: BF8CC47F
	s_barrier                                                  // 000000008124: BF8A0000
	v_mfma_f32_16x16x16_f16 v[52:55], a[96:97], a[0:1], 0      // 000000008128: D3CD0034 1A020160
	v_mul_f32_e32 v148, s48, v148                              // 000000008130: 0B292830
	v_mul_f32_e32 v149, s48, v149                              // 000000008134: 0B2B2A30
	v_mfma_f32_16x16x16_f16 v[52:55], a[98:99], a[2:3], v[52:55]// 000000008138: D3CD0034 1CD20562
	ds_write_b32 v13, v44 offset:8704                          // 000000008140: D81A2200 00002C0D
	ds_write_b32 v13, v45 offset:9760                          // 000000008148: D81A2620 00002D0D
	v_mfma_f32_16x16x16_f16 v[52:55], a[100:101], a[4:5], v[52:55]// 000000008150: D3CD0034 1CD20964
	v_mul_f32_e32 v150, s48, v150                              // 000000008158: 0B2D2C30
	v_mul_f32_e32 v151, s48, v151                              // 00000000815C: 0B2F2E30
	v_mfma_f32_16x16x16_f16 v[52:55], a[102:103], a[6:7], v[52:55]// 000000008160: D3CD0034 1CD20D66
	ds_write_b32 v13, v46 offset:10880                         // 000000008168: D81A2A80 00002E0D
	ds_write_b32 v13, v47 offset:11936                         // 000000008170: D81A2EA0 00002F0D
	v_mfma_f32_16x16x16_f16 v[56:59], a[96:97], a[8:9], 0      // 000000008178: D3CD0038 1A021160
	v_mul_f32_e32 v152, s48, v152                              // 000000008180: 0B313030
	v_mul_f32_e32 v153, s48, v153                              // 000000008184: 0B333230
	v_mfma_f32_16x16x16_f16 v[56:59], a[98:99], a[10:11], v[56:59]// 000000008188: D3CD0038 1CE21562
	v_mul_f32_e32 v154, s48, v154                              // 000000008190: 0B353430
	v_mul_f32_e32 v155, s48, v155                              // 000000008194: 0B373630
	v_mfma_f32_16x16x16_f16 v[56:59], a[100:101], a[12:13], v[56:59]// 000000008198: D3CD0038 1CE21964
	v_cvt_pkrtz_f16_f32 v148, v148, v149                       // 0000000081A0: D2960094 00032B94
	v_cvt_pkrtz_f16_f32 v149, v150, v151                       // 0000000081A8: D2960095 00032F96
	v_mfma_f32_16x16x16_f16 v[56:59], a[102:103], a[14:15], v[56:59]// 0000000081B0: D3CD0038 1CE21D66
	v_cvt_pkrtz_f16_f32 v150, v152, v153                       // 0000000081B8: D2960096 00033398
	v_cvt_pkrtz_f16_f32 v151, v154, v155                       // 0000000081C0: D2960097 0003379A
	v_mfma_f32_16x16x16_f16 v[60:63], a[96:97], a[16:17], 0    // 0000000081C8: D3CD003C 1A022160
	v_mfma_f32_16x16x16_f16 v[60:63], a[98:99], a[18:19], v[60:63]// 0000000081D0: D3CD003C 1CF22562
	ds_write_b64 v22, v[148:149] offset:31232                  // 0000000081D8: D89A7A00 00009416
	v_mfma_f32_16x16x16_f16 v[60:63], a[100:101], a[20:21], v[60:63]// 0000000081E0: D3CD003C 1CF22964
	v_mfma_f32_16x16x16_f16 v[60:63], a[102:103], a[22:23], v[60:63]// 0000000081E8: D3CD003C 1CF22D66
	ds_write_b64 v22, v[150:151] offset:31776                  // 0000000081F0: D89A7C20 00009616
	v_mfma_f32_16x16x16_f16 v[64:67], a[104:105], a[0:1], 0    // 0000000081F8: D3CD0040 1A020168
	v_mfma_f32_16x16x16_f16 v[64:67], a[106:107], a[2:3], v[64:67]// 000000008200: D3CD0040 1D02056A
	ds_read_b128 v[124:127], v14 offset:13056                  // 000000008208: D9FE3300 7C00000E
	ds_write_b32 v13, v36                                      // 000000008210: D81A0000 0000240D
	v_mfma_f32_16x16x16_f16 v[64:67], a[108:109], a[4:5], v[64:67]// 000000008218: D3CD0040 1D02096C
	v_mfma_f32_16x16x16_f16 v[64:67], a[110:111], a[6:7], v[64:67]// 000000008220: D3CD0040 1D020D6E
	v_mfma_f32_16x16x16_f16 v[68:71], a[104:105], a[8:9], 0    // 000000008228: D3CD0044 1A021168
	ds_read_b128 v[128:131], v14 offset:13568                  // 000000008230: D9FE3500 8000000E
	ds_write_b32 v13, v37 offset:1056                          // 000000008238: D81A0420 0000250D
	v_mfma_f32_16x16x16_f16 v[68:71], a[106:107], a[10:11], v[68:71]// 000000008240: D3CD0044 1D12156A
	v_mfma_f32_16x16x16_f16 v[68:71], a[108:109], a[12:13], v[68:71]// 000000008248: D3CD0044 1D12196C
	v_mfma_f32_16x16x16_f16 v[68:71], a[110:111], a[14:15], v[68:71]// 000000008250: D3CD0044 1D121D6E
	ds_read_b128 v[132:135], v14 offset:15232                  // 000000008258: D9FE3B80 8400000E
	ds_write_b32 v13, v38 offset:2176                          // 000000008260: D81A0880 0000260D
	v_mfma_f32_16x16x16_f16 v[72:75], a[104:105], a[16:17], 0  // 000000008268: D3CD0048 1A022168
	v_mfma_f32_16x16x16_f16 v[72:75], a[106:107], a[18:19], v[72:75]// 000000008270: D3CD0048 1D22256A
	v_mfma_f32_16x16x16_f16 v[72:75], a[108:109], a[20:21], v[72:75]// 000000008278: D3CD0048 1D22296C
	ds_read_b128 v[136:139], v14 offset:15744                  // 000000008280: D9FE3D80 8800000E
	ds_write_b32 v13, v39 offset:3232                          // 000000008288: D81A0CA0 0000270D
	v_mfma_f32_16x16x16_f16 v[72:75], a[110:111], a[22:23], v[72:75]// 000000008290: D3CD0048 1D222D6E
	s_cmp_lt_i32 s74, 12                                       // 000000008298: BF048C4A
	s_cbranch_scc0 label_120E                                  // 00000000829C: BF8400E6
	s_mov_b32 s60, 0xffe0fffe                                  // 0000000082A0: BEBC00FF FFE0FFFE
	s_mov_b32 s61, 0xe000fe00                                  // 0000000082A8: BEBD00FF E000FE00
	s_nop 0                                                    // 0000000082B0: BF800000
	s_add_u32 s62, 0, s47                                      // 0000000082B4: 803E2F80
	s_cmp_lt_i32 s74, s62                                      // 0000000082B8: BF043E4A
	s_cbranch_scc1 label_1158                                  // 0000000082BC: BF850028
	s_cmp_eq_i32 s74, s62                                      // 0000000082C0: BF003E4A
	s_cbranch_scc1 label_113D                                  // 0000000082C4: BF85000B
	s_add_u32 s62, 4, s47                                      // 0000000082C8: 803E2F84
	s_cmp_lt_i32 s74, s62                                      // 0000000082CC: BF043E4A
	s_cbranch_scc1 label_1178                                  // 0000000082D0: BF850043
	s_cmp_eq_i32 s74, s62                                      // 0000000082D4: BF003E4A
	s_cbranch_scc1 label_115D                                  // 0000000082D8: BF850026
	s_add_u32 s62, 8, s47                                      // 0000000082DC: 803E2F88
	s_cmp_lt_i32 s74, s62                                      // 0000000082E0: BF043E4A
	s_cbranch_scc1 label_1198                                  // 0000000082E4: BF85005E
	s_cmp_eq_i32 s74, s62                                      // 0000000082E8: BF003E4A
	s_cbranch_scc1 label_117D                                  // 0000000082EC: BF850041
	s_branch label_119D                                        // 0000000082F0: BF820060

00000000000082f4 <label_113D>:
	v_cndmask_b32_e64 v52, v52, v178, s[60:61]                 // 0000000082F4: D1000034 00F36534
	s_lshl_b32 s60, s60, 1                                     // 0000000082FC: 8E3C813C
	s_lshl_b32 s61, s61, 1                                     // 000000008300: 8E3D813D
	s_and_b32 s60, 0xfffeffff, s60                             // 000000008304: 863C3CFF FFFEFFFF
	s_and_b32 s61, 0xfffeffff, s61                             // 00000000830C: 863D3DFF FFFEFFFF
	v_cndmask_b32_e64 v53, v53, v178, s[60:61]                 // 000000008314: D1000035 00F36535
	s_lshl_b32 s60, s60, 1                                     // 00000000831C: 8E3C813C
	s_lshl_b32 s61, s61, 1                                     // 000000008320: 8E3D813D
	s_and_b32 s60, 0xfffeffff, s60                             // 000000008324: 863C3CFF FFFEFFFF
	s_and_b32 s61, 0xfffeffff, s61                             // 00000000832C: 863D3DFF FFFEFFFF
	v_cndmask_b32_e64 v54, v54, v178, s[60:61]                 // 000000008334: D1000036 00F36536
	s_lshl_b32 s60, s60, 1                                     // 00000000833C: 8E3C813C
	s_lshl_b32 s61, s61, 1                                     // 000000008340: 8E3D813D
	s_and_b32 s60, 0xfffeffff, s60                             // 000000008344: 863C3CFF FFFEFFFF
	s_and_b32 s61, 0xfffeffff, s61                             // 00000000834C: 863D3DFF FFFEFFFF
	v_cndmask_b32_e64 v55, v55, v178, s[60:61]                 // 000000008354: D1000037 00F36537
	s_branch label_1178                                        // 00000000835C: BF820020

0000000000008360 <label_1158>:
	v_mov_b32_e32 v52, v178                                    // 000000008360: 7E6803B2
	v_mov_b32_e32 v53, v178                                    // 000000008364: 7E6A03B2
	v_mov_b32_e32 v54, v178                                    // 000000008368: 7E6C03B2
	v_mov_b32_e32 v55, v178                                    // 00000000836C: 7E6E03B2
	s_branch label_1178                                        // 000000008370: BF82001B

0000000000008374 <label_115D>:
	v_cndmask_b32_e64 v56, v56, v178, s[60:61]                 // 000000008374: D1000038 00F36538
	s_lshl_b32 s60, s60, 1                                     // 00000000837C: 8E3C813C
	s_lshl_b32 s61, s61, 1                                     // 000000008380: 8E3D813D
	s_and_b32 s60, 0xfffeffff, s60                             // 000000008384: 863C3CFF FFFEFFFF
	s_and_b32 s61, 0xfffeffff, s61                             // 00000000838C: 863D3DFF FFFEFFFF
	v_cndmask_b32_e64 v57, v57, v178, s[60:61]                 // 000000008394: D1000039 00F36539
	s_lshl_b32 s60, s60, 1                                     // 00000000839C: 8E3C813C
	s_lshl_b32 s61, s61, 1                                     // 0000000083A0: 8E3D813D
	s_and_b32 s60, 0xfffeffff, s60                             // 0000000083A4: 863C3CFF FFFEFFFF
	s_and_b32 s61, 0xfffeffff, s61                             // 0000000083AC: 863D3DFF FFFEFFFF
	v_cndmask_b32_e64 v58, v58, v178, s[60:61]                 // 0000000083B4: D100003A 00F3653A
	s_lshl_b32 s60, s60, 1                                     // 0000000083BC: 8E3C813C
	s_lshl_b32 s61, s61, 1                                     // 0000000083C0: 8E3D813D
	s_and_b32 s60, 0xfffeffff, s60                             // 0000000083C4: 863C3CFF FFFEFFFF
	s_and_b32 s61, 0xfffeffff, s61                             // 0000000083CC: 863D3DFF FFFEFFFF
	v_cndmask_b32_e64 v59, v59, v178, s[60:61]                 // 0000000083D4: D100003B 00F3653B
	s_branch label_1198                                        // 0000000083DC: BF820020

00000000000083e0 <label_1178>:
	v_mov_b32_e32 v56, v178                                    // 0000000083E0: 7E7003B2
	v_mov_b32_e32 v57, v178                                    // 0000000083E4: 7E7203B2
	v_mov_b32_e32 v58, v178                                    // 0000000083E8: 7E7403B2
	v_mov_b32_e32 v59, v178                                    // 0000000083EC: 7E7603B2
	s_branch label_1198                                        // 0000000083F0: BF82001B

00000000000083f4 <label_117D>:
	v_cndmask_b32_e64 v60, v60, v178, s[60:61]                 // 0000000083F4: D100003C 00F3653C
	s_lshl_b32 s60, s60, 1                                     // 0000000083FC: 8E3C813C
	s_lshl_b32 s61, s61, 1                                     // 000000008400: 8E3D813D
	s_and_b32 s60, 0xfffeffff, s60                             // 000000008404: 863C3CFF FFFEFFFF
	s_and_b32 s61, 0xfffeffff, s61                             // 00000000840C: 863D3DFF FFFEFFFF
	v_cndmask_b32_e64 v61, v61, v178, s[60:61]                 // 000000008414: D100003D 00F3653D
	s_lshl_b32 s60, s60, 1                                     // 00000000841C: 8E3C813C
	s_lshl_b32 s61, s61, 1                                     // 000000008420: 8E3D813D
	s_and_b32 s60, 0xfffeffff, s60                             // 000000008424: 863C3CFF FFFEFFFF
	s_and_b32 s61, 0xfffeffff, s61                             // 00000000842C: 863D3DFF FFFEFFFF
	v_cndmask_b32_e64 v62, v62, v178, s[60:61]                 // 000000008434: D100003E 00F3653E
	s_lshl_b32 s60, s60, 1                                     // 00000000843C: 8E3C813C
	s_lshl_b32 s61, s61, 1                                     // 000000008440: 8E3D813D
	s_and_b32 s60, 0xfffeffff, s60                             // 000000008444: 863C3CFF FFFEFFFF
	s_and_b32 s61, 0xfffeffff, s61                             // 00000000844C: 863D3DFF FFFEFFFF
	v_cndmask_b32_e64 v63, v63, v178, s[60:61]                 // 000000008454: D100003F 00F3653F
	s_branch label_119D                                        // 00000000845C: BF820005

0000000000008460 <label_1198>:
	v_mov_b32_e32 v60, v178                                    // 000000008460: 7E7803B2
	v_mov_b32_e32 v61, v178                                    // 000000008464: 7E7A03B2
	v_mov_b32_e32 v62, v178                                    // 000000008468: 7E7C03B2
	v_mov_b32_e32 v63, v178                                    // 00000000846C: 7E7E03B2
	s_branch label_119D                                        // 000000008470: BF820000

0000000000008474 <label_119D>:
	s_addk_i32 s74, 0x1                                        // 000000008474: B74A0001
	s_add_u32 s62, 0, s47                                      // 000000008478: 803E2F80
	s_cmp_lt_i32 s74, s62                                      // 00000000847C: BF043E4A
	s_cbranch_scc1 label_11C9                                  // 000000008480: BF850028
	s_cmp_eq_i32 s74, s62                                      // 000000008484: BF003E4A
	s_cbranch_scc1 label_11AE                                  // 000000008488: BF85000B
	s_add_u32 s62, 4, s47                                      // 00000000848C: 803E2F84
	s_cmp_lt_i32 s74, s62                                      // 000000008490: BF043E4A
	s_cbranch_scc1 label_11E9                                  // 000000008494: BF850043
	s_cmp_eq_i32 s74, s62                                      // 000000008498: BF003E4A
	s_cbranch_scc1 label_11CE                                  // 00000000849C: BF850026
	s_add_u32 s62, 8, s47                                      // 0000000084A0: 803E2F88
	s_cmp_lt_i32 s74, s62                                      // 0000000084A4: BF043E4A
	s_cbranch_scc1 label_1209                                  // 0000000084A8: BF85005E
	s_cmp_eq_i32 s74, s62                                      // 0000000084AC: BF003E4A
	s_cbranch_scc1 label_11EE                                  // 0000000084B0: BF850041
	s_branch label_120E                                        // 0000000084B4: BF820060

00000000000084b8 <label_11AE>:
	v_cndmask_b32_e64 v64, v64, v178, s[60:61]                 // 0000000084B8: D1000040 00F36540
	s_lshl_b32 s60, s60, 1                                     // 0000000084C0: 8E3C813C
	s_lshl_b32 s61, s61, 1                                     // 0000000084C4: 8E3D813D
	s_and_b32 s60, 0xfffeffff, s60                             // 0000000084C8: 863C3CFF FFFEFFFF
	s_and_b32 s61, 0xfffeffff, s61                             // 0000000084D0: 863D3DFF FFFEFFFF
	v_cndmask_b32_e64 v65, v65, v178, s[60:61]                 // 0000000084D8: D1000041 00F36541
	s_lshl_b32 s60, s60, 1                                     // 0000000084E0: 8E3C813C
	s_lshl_b32 s61, s61, 1                                     // 0000000084E4: 8E3D813D
	s_and_b32 s60, 0xfffeffff, s60                             // 0000000084E8: 863C3CFF FFFEFFFF
	s_and_b32 s61, 0xfffeffff, s61                             // 0000000084F0: 863D3DFF FFFEFFFF
	v_cndmask_b32_e64 v66, v66, v178, s[60:61]                 // 0000000084F8: D1000042 00F36542
	s_lshl_b32 s60, s60, 1                                     // 000000008500: 8E3C813C
	s_lshl_b32 s61, s61, 1                                     // 000000008504: 8E3D813D
	s_and_b32 s60, 0xfffeffff, s60                             // 000000008508: 863C3CFF FFFEFFFF
	s_and_b32 s61, 0xfffeffff, s61                             // 000000008510: 863D3DFF FFFEFFFF
	v_cndmask_b32_e64 v67, v67, v178, s[60:61]                 // 000000008518: D1000043 00F36543
	s_branch label_11E9                                        // 000000008520: BF820020

0000000000008524 <label_11C9>:
	v_mov_b32_e32 v64, v178                                    // 000000008524: 7E8003B2
	v_mov_b32_e32 v65, v178                                    // 000000008528: 7E8203B2
	v_mov_b32_e32 v66, v178                                    // 00000000852C: 7E8403B2
	v_mov_b32_e32 v67, v178                                    // 000000008530: 7E8603B2
	s_branch label_11E9                                        // 000000008534: BF82001B

0000000000008538 <label_11CE>:
	v_cndmask_b32_e64 v68, v68, v178, s[60:61]                 // 000000008538: D1000044 00F36544
	s_lshl_b32 s60, s60, 1                                     // 000000008540: 8E3C813C
	s_lshl_b32 s61, s61, 1                                     // 000000008544: 8E3D813D
	s_and_b32 s60, 0xfffeffff, s60                             // 000000008548: 863C3CFF FFFEFFFF
	s_and_b32 s61, 0xfffeffff, s61                             // 000000008550: 863D3DFF FFFEFFFF
	v_cndmask_b32_e64 v69, v69, v178, s[60:61]                 // 000000008558: D1000045 00F36545
	s_lshl_b32 s60, s60, 1                                     // 000000008560: 8E3C813C
	s_lshl_b32 s61, s61, 1                                     // 000000008564: 8E3D813D
	s_and_b32 s60, 0xfffeffff, s60                             // 000000008568: 863C3CFF FFFEFFFF
	s_and_b32 s61, 0xfffeffff, s61                             // 000000008570: 863D3DFF FFFEFFFF
	v_cndmask_b32_e64 v70, v70, v178, s[60:61]                 // 000000008578: D1000046 00F36546
	s_lshl_b32 s60, s60, 1                                     // 000000008580: 8E3C813C
	s_lshl_b32 s61, s61, 1                                     // 000000008584: 8E3D813D
	s_and_b32 s60, 0xfffeffff, s60                             // 000000008588: 863C3CFF FFFEFFFF
	s_and_b32 s61, 0xfffeffff, s61                             // 000000008590: 863D3DFF FFFEFFFF
	v_cndmask_b32_e64 v71, v71, v178, s[60:61]                 // 000000008598: D1000047 00F36547
	s_branch label_1209                                        // 0000000085A0: BF820020

00000000000085a4 <label_11E9>:
	v_mov_b32_e32 v68, v178                                    // 0000000085A4: 7E8803B2
	v_mov_b32_e32 v69, v178                                    // 0000000085A8: 7E8A03B2
	v_mov_b32_e32 v70, v178                                    // 0000000085AC: 7E8C03B2
	v_mov_b32_e32 v71, v178                                    // 0000000085B0: 7E8E03B2
	s_branch label_1209                                        // 0000000085B4: BF82001B

00000000000085b8 <label_11EE>:
	v_cndmask_b32_e64 v72, v72, v178, s[60:61]                 // 0000000085B8: D1000048 00F36548
	s_lshl_b32 s60, s60, 1                                     // 0000000085C0: 8E3C813C
	s_lshl_b32 s61, s61, 1                                     // 0000000085C4: 8E3D813D
	s_and_b32 s60, 0xfffeffff, s60                             // 0000000085C8: 863C3CFF FFFEFFFF
	s_and_b32 s61, 0xfffeffff, s61                             // 0000000085D0: 863D3DFF FFFEFFFF
	v_cndmask_b32_e64 v73, v73, v178, s[60:61]                 // 0000000085D8: D1000049 00F36549
	s_lshl_b32 s60, s60, 1                                     // 0000000085E0: 8E3C813C
	s_lshl_b32 s61, s61, 1                                     // 0000000085E4: 8E3D813D
	s_and_b32 s60, 0xfffeffff, s60                             // 0000000085E8: 863C3CFF FFFEFFFF
	s_and_b32 s61, 0xfffeffff, s61                             // 0000000085F0: 863D3DFF FFFEFFFF
	v_cndmask_b32_e64 v74, v74, v178, s[60:61]                 // 0000000085F8: D100004A 00F3654A
	s_lshl_b32 s60, s60, 1                                     // 000000008600: 8E3C813C
	s_lshl_b32 s61, s61, 1                                     // 000000008604: 8E3D813D
	s_and_b32 s60, 0xfffeffff, s60                             // 000000008608: 863C3CFF FFFEFFFF
	s_and_b32 s61, 0xfffeffff, s61                             // 000000008610: 863D3DFF FFFEFFFF
	v_cndmask_b32_e64 v75, v75, v178, s[60:61]                 // 000000008618: D100004B 00F3654B
	s_branch label_120E                                        // 000000008620: BF820005

0000000000008624 <label_1209>:
	v_mov_b32_e32 v72, v178                                    // 000000008624: 7E9003B2
	v_mov_b32_e32 v73, v178                                    // 000000008628: 7E9203B2
	v_mov_b32_e32 v74, v178                                    // 00000000862C: 7E9403B2
	v_mov_b32_e32 v75, v178                                    // 000000008630: 7E9603B2
	s_branch label_120E                                        // 000000008634: BF820000

0000000000008638 <label_120E>:
	s_addk_i32 s74, 0x1                                        // 000000008638: B74A0001
	s_waitcnt lgkmcnt(8)                                       // 00000000863C: BF8CC87F
	s_barrier                                                  // 000000008640: BF8A0000
	v_mfma_f32_16x16x16_f16 v[76:79], v[108:109], a[72:73], 0  // 000000008644: D3CD004C 1202916C
	v_fma_f32 v52, v52, s57, -v140                             // 00000000864C: D1CB0034 86307334
	v_fma_f32 v53, v53, s57, -v141                             // 000000008654: D1CB0035 86347335
	v_fma_f32 v54, v54, s57, -v142                             // 00000000865C: D1CB0036 86387336
	v_fma_f32 v55, v55, s57, -v143                             // 000000008664: D1CB0037 863C7337
	v_fma_f32 v56, v56, s57, -v140                             // 00000000866C: D1CB0038 86307338
	v_fma_f32 v57, v57, s57, -v141                             // 000000008674: D1CB0039 86347339
	v_mfma_f32_16x16x16_f16 v[76:79], v[110:111], a[74:75], v[76:79]// 00000000867C: D3CD004C 1532956E
	ds_read_b128 a[96:99], v14 offset:4352                     // 000000008684: DBFE1100 6000000E
	ds_read_b128 a[100:103], v14 offset:4864                   // 00000000868C: DBFE1300 6400000E
	v_mfma_f32_16x16x16_f16 v[76:79], v[112:113], a[76:77], v[76:79]// 000000008694: D3CD004C 15329970
	v_fma_f32 v58, v58, s57, -v142                             // 00000000869C: D1CB003A 8638733A
	v_fma_f32 v59, v59, s57, -v143                             // 0000000086A4: D1CB003B 863C733B
	v_fma_f32 v60, v60, s57, -v140                             // 0000000086AC: D1CB003C 8630733C
	v_fma_f32 v61, v61, s57, -v141                             // 0000000086B4: D1CB003D 8634733D
	v_fma_f32 v62, v62, s57, -v142                             // 0000000086BC: D1CB003E 8638733E
	v_fma_f32 v63, v63, s57, -v143                             // 0000000086C4: D1CB003F 863C733F
	v_mfma_f32_16x16x16_f16 v[76:79], v[114:115], a[78:79], v[76:79]// 0000000086CC: D3CD004C 15329D72
	v_fma_f32 v64, v64, s57, -v144                             // 0000000086D4: D1CB0040 86407340
	v_fma_f32 v65, v65, s57, -v145                             // 0000000086DC: D1CB0041 86447341
	v_fma_f32 v66, v66, s57, -v146                             // 0000000086E4: D1CB0042 86487342
	v_fma_f32 v67, v67, s57, -v147                             // 0000000086EC: D1CB0043 864C7343
	v_fma_f32 v68, v68, s57, -v144                             // 0000000086F4: D1CB0044 86407344
	v_fma_f32 v69, v69, s57, -v145                             // 0000000086FC: D1CB0045 86447345
	v_mfma_f32_16x16x16_f16 v[80:83], v[108:109], a[80:81], 0  // 000000008704: D3CD0050 1202A16C
	v_fma_f32 v70, v70, s57, -v146                             // 00000000870C: D1CB0046 86487346
	v_fma_f32 v71, v71, s57, -v147                             // 000000008714: D1CB0047 864C7347
	v_fma_f32 v72, v72, s57, -v144                             // 00000000871C: D1CB0048 86407348
	v_fma_f32 v73, v73, s57, -v145                             // 000000008724: D1CB0049 86447349
	v_fma_f32 v74, v74, s57, -v146                             // 00000000872C: D1CB004A 8648734A
	v_fma_f32 v75, v75, s57, -v147                             // 000000008734: D1CB004B 864C734B
	v_mfma_f32_16x16x16_f16 v[80:83], v[110:111], a[82:83], v[80:83]// 00000000873C: D3CD0050 1542A56E
	ds_read_b128 a[104:107], v14 offset:6528                   // 000000008744: DBFE1980 6800000E
	ds_read_b128 a[108:111], v14 offset:7040                   // 00000000874C: DBFE1B80 6C00000E
	v_mfma_f32_16x16x16_f16 v[80:83], v[112:113], a[84:85], v[80:83]// 000000008754: D3CD0050 1542A970
	v_exp_f32_e32 v52, v52                                     // 00000000875C: 7E684134
	v_exp_f32_e32 v53, v53                                     // 000000008760: 7E6A4135
	v_mfma_f32_16x16x16_f16 v[80:83], v[114:115], a[86:87], v[80:83]// 000000008764: D3CD0050 1542AD72
	v_exp_f32_e32 v54, v54                                     // 00000000876C: 7E6C4136
	v_exp_f32_e32 v55, v55                                     // 000000008770: 7E6E4137
	v_mfma_f32_16x16x16_f16 v[84:87], v[108:109], a[88:89], 0  // 000000008774: D3CD0054 1202B16C
	v_exp_f32_e32 v56, v56                                     // 00000000877C: 7E704138
	v_exp_f32_e32 v57, v57                                     // 000000008780: 7E724139
	v_mfma_f32_16x16x16_f16 v[84:87], v[110:111], a[90:91], v[84:87]// 000000008784: D3CD0054 1552B56E
	ds_read_b32 v156, v21 offset:31232                         // 00000000878C: D86C7A00 9C000015
	ds_read_b32 v157, v21 offset:31248                         // 000000008794: D86C7A10 9D000015
	v_mfma_f32_16x16x16_f16 v[84:87], v[112:113], a[92:93], v[84:87]// 00000000879C: D3CD0054 1552B970
	v_exp_f32_e32 v58, v58                                     // 0000000087A4: 7E74413A
	v_exp_f32_e32 v59, v59                                     // 0000000087A8: 7E76413B
	v_mfma_f32_16x16x16_f16 v[84:87], v[114:115], a[94:95], v[84:87]// 0000000087AC: D3CD0054 1552BD72
	ds_read_b32 v158, v21 offset:31264                         // 0000000087B4: D86C7A20 9E000015
	ds_read_b32 v159, v21 offset:31280                         // 0000000087BC: D86C7A30 9F000015
	v_mfma_f32_16x16x16_f16 v[88:91], v[116:117], a[72:73], 0  // 0000000087C4: D3CD0058 12029174
	v_exp_f32_e32 v60, v60                                     // 0000000087CC: 7E78413C
	v_exp_f32_e32 v61, v61                                     // 0000000087D0: 7E7A413D
	v_mfma_f32_16x16x16_f16 v[88:91], v[118:119], a[74:75], v[88:91]// 0000000087D4: D3CD0058 15629576
	v_exp_f32_e32 v62, v62                                     // 0000000087DC: 7E7C413E
	v_exp_f32_e32 v63, v63                                     // 0000000087E0: 7E7E413F
	v_mfma_f32_16x16x16_f16 v[88:91], v[120:121], a[76:77], v[88:91]// 0000000087E4: D3CD0058 15629978
	v_exp_f32_e32 v64, v64                                     // 0000000087EC: 7E804140
	v_exp_f32_e32 v65, v65                                     // 0000000087F0: 7E824141
	v_mfma_f32_16x16x16_f16 v[88:91], v[122:123], a[78:79], v[88:91]// 0000000087F4: D3CD0058 15629D7A
	v_exp_f32_e32 v66, v66                                     // 0000000087FC: 7E844142
	v_exp_f32_e32 v67, v67                                     // 000000008800: 7E864143
	v_mfma_f32_16x16x16_f16 v[92:95], v[116:117], a[80:81], 0  // 000000008804: D3CD005C 1202A174
	v_exp_f32_e32 v68, v68                                     // 00000000880C: 7E884144
	v_exp_f32_e32 v69, v69                                     // 000000008810: 7E8A4145
	v_mfma_f32_16x16x16_f16 v[92:95], v[118:119], a[82:83], v[92:95]// 000000008814: D3CD005C 1572A576
	v_exp_f32_e32 v70, v70                                     // 00000000881C: 7E8C4146
	v_exp_f32_e32 v71, v71                                     // 000000008820: 7E8E4147
	v_mfma_f32_16x16x16_f16 v[92:95], v[120:121], a[84:85], v[92:95]// 000000008824: D3CD005C 1572A978
	v_exp_f32_e32 v72, v72                                     // 00000000882C: 7E904148
	v_exp_f32_e32 v73, v73                                     // 000000008830: 7E924149
	v_mfma_f32_16x16x16_f16 v[92:95], v[122:123], a[86:87], v[92:95]// 000000008834: D3CD005C 1572AD7A
	v_exp_f32_e32 v74, v74                                     // 00000000883C: 7E94414A
	v_exp_f32_e32 v75, v75                                     // 000000008840: 7E96414B
	v_mfma_f32_16x16x16_f16 v[96:99], v[116:117], a[88:89], 0  // 000000008844: D3CD0060 1202B174
	v_cvt_pkrtz_f16_f32 v164, v52, v53                         // 00000000884C: D29600A4 00026B34
	v_cvt_pkrtz_f16_f32 v165, v54, v55                         // 000000008854: D29600A5 00026F36
	v_cvt_pkrtz_f16_f32 v166, v56, v57                         // 00000000885C: D29600A6 00027338
	v_cvt_pkrtz_f16_f32 v167, v58, v59                         // 000000008864: D29600A7 0002773A
	v_cvt_pkrtz_f16_f32 v168, v60, v61                         // 00000000886C: D29600A8 00027B3C
	v_cvt_pkrtz_f16_f32 v169, v62, v63                         // 000000008874: D29600A9 00027F3E
	v_mfma_f32_16x16x16_f16 v[96:99], v[118:119], a[90:91], v[96:99]// 00000000887C: D3CD0060 1582B576
	v_cvt_pkrtz_f16_f32 v170, v64, v65                         // 000000008884: D29600AA 00028340
	v_cvt_pkrtz_f16_f32 v171, v66, v67                         // 00000000888C: D29600AB 00028742
	v_cvt_pkrtz_f16_f32 v172, v68, v69                         // 000000008894: D29600AC 00028B44
	v_cvt_pkrtz_f16_f32 v173, v70, v71                         // 00000000889C: D29600AD 00028F46
	v_cvt_pkrtz_f16_f32 v174, v72, v73                         // 0000000088A4: D29600AE 00029348
	v_cvt_pkrtz_f16_f32 v175, v74, v75                         // 0000000088AC: D29600AF 0002974A
	v_mfma_f32_16x16x16_f16 v[96:99], v[120:121], a[92:93], v[96:99]// 0000000088B4: D3CD0060 1582B978
	s_add_u32 s32, s66, s32                                    // 0000000088BC: 80202042
	s_addc_u32 s33, 0, s33                                     // 0000000088C0: 82212180
	v_mfma_f32_16x16x16_f16 v[96:99], v[122:123], a[94:95], v[96:99]// 0000000088C4: D3CD0060 1582BD7A
	s_waitcnt lgkmcnt(0)                                       // 0000000088CC: BF8CC07F
	s_barrier                                                  // 0000000088D0: BF8A0000
	v_mfma_f32_16x16x16_f16 v[180:183], v[124:125], v[164:165], v[180:183]// 0000000088D4: D3CD00B4 06D3497C
	v_subrev_f32_dpp v76, v176, v76 quad_perm:[0,0,0,0] row_mask:0xf bank_mask:0xf// 0000000088DC: 069898FA FF0000B0
	v_subrev_f32_dpp v77, v176, v77 quad_perm:[1,1,1,1] row_mask:0xf bank_mask:0xf// 0000000088E4: 069A9AFA FF0055B0
	v_subrev_f32_dpp v78, v176, v78 quad_perm:[2,2,2,2] row_mask:0xf bank_mask:0xf// 0000000088EC: 069C9CFA FF00AAB0
	v_subrev_f32_dpp v79, v176, v79 quad_perm:[3,3,3,3] row_mask:0xf bank_mask:0xf// 0000000088F4: 069E9EFA FF00FFB0
	v_subrev_f32_dpp v80, v176, v80 quad_perm:[0,0,0,0] row_mask:0xf bank_mask:0xf// 0000000088FC: 06A0A0FA FF0000B0
	v_subrev_f32_dpp v81, v176, v81 quad_perm:[1,1,1,1] row_mask:0xf bank_mask:0xf// 000000008904: 06A2A2FA FF0055B0
	v_mfma_f32_16x16x16_f16 v[184:187], v[126:127], v[164:165], v[184:187]// 00000000890C: D3CD00B8 06E3497E
	v_subrev_f32_dpp v82, v176, v82 quad_perm:[2,2,2,2] row_mask:0xf bank_mask:0xf// 000000008914: 06A4A4FA FF00AAB0
	v_subrev_f32_dpp v83, v176, v83 quad_perm:[3,3,3,3] row_mask:0xf bank_mask:0xf// 00000000891C: 06A6A6FA FF00FFB0
	v_subrev_f32_dpp v84, v176, v84 quad_perm:[0,0,0,0] row_mask:0xf bank_mask:0xf// 000000008924: 06A8A8FA FF0000B0
	v_subrev_f32_dpp v85, v176, v85 quad_perm:[1,1,1,1] row_mask:0xf bank_mask:0xf// 00000000892C: 06AAAAFA FF0055B0
	v_subrev_f32_dpp v86, v176, v86 quad_perm:[2,2,2,2] row_mask:0xf bank_mask:0xf// 000000008934: 06ACACFA FF00AAB0
	v_subrev_f32_dpp v87, v176, v87 quad_perm:[3,3,3,3] row_mask:0xf bank_mask:0xf// 00000000893C: 06AEAEFA FF00FFB0
	v_mfma_f32_16x16x16_f16 v[188:191], v[128:129], v[164:165], v[188:191]// 000000008944: D3CD00BC 06F34980
	v_mul_f32_e32 v76, v52, v76                                // 00000000894C: 0A989934
	v_mul_f32_e32 v77, v53, v77                                // 000000008950: 0A9A9B35
	v_mul_f32_e32 v78, v54, v78                                // 000000008954: 0A9C9D36
	v_mul_f32_e32 v79, v55, v79                                // 000000008958: 0A9E9F37
	v_mul_f32_e32 v80, v56, v80                                // 00000000895C: 0AA0A138
	v_mul_f32_e32 v81, v57, v81                                // 000000008960: 0AA2A339
	v_mfma_f32_16x16x16_f16 v[192:195], v[130:131], v[164:165], v[192:195]// 000000008964: D3CD00C0 07034982
	v_mul_f32_e32 v82, v58, v82                                // 00000000896C: 0AA4A53A
	v_mul_f32_e32 v83, v59, v83                                // 000000008970: 0AA6A73B
	v_mul_f32_e32 v84, v60, v84                                // 000000008974: 0AA8A93C
	v_mul_f32_e32 v85, v61, v85                                // 000000008978: 0AAAAB3D
	v_mul_f32_e32 v86, v62, v86                                // 00000000897C: 0AACAD3E
	v_mul_f32_e32 v87, v63, v87                                // 000000008980: 0AAEAF3F
	v_mfma_f32_16x16x16_f16 v[196:199], v[124:125], v[166:167], v[196:199]// 000000008984: D3CD00C4 07134D7C
	v_cvt_pkrtz_f16_f32 v76, v76, v77                          // 00000000898C: D296004C 00029B4C
	v_cvt_pkrtz_f16_f32 v77, v78, v79                          // 000000008994: D296004D 00029F4E
	v_cvt_pkrtz_f16_f32 v78, v80, v81                          // 00000000899C: D296004E 0002A350
	v_cvt_pkrtz_f16_f32 v79, v82, v83                          // 0000000089A4: D296004F 0002A752
	v_cvt_pkrtz_f16_f32 v80, v84, v85                          // 0000000089AC: D2960050 0002AB54
	v_cvt_pkrtz_f16_f32 v81, v86, v87                          // 0000000089B4: D2960051 0002AF56
	v_mfma_f32_16x16x16_f16 v[200:203], v[126:127], v[166:167], v[200:203]// 0000000089BC: D3CD00C8 07234D7E
	v_mov_b32_dpp v18, v76 quad_perm:[1,0,3,2] row_mask:0xf bank_mask:0xf// 0000000089C4: 7E2402FA FF00B14C
	v_perm_b32 v52, v18, v76, v17                              // 0000000089CC: D1ED0034 04469912
	v_mov_b32_dpp v18, v77 quad_perm:[1,0,3,2] row_mask:0xf bank_mask:0xf// 0000000089D4: 7E2402FA FF00B14D
	v_perm_b32 v53, v18, v77, v17                              // 0000000089DC: D1ED0035 04469B12
	v_mov_b32_dpp v18, v78 quad_perm:[1,0,3,2] row_mask:0xf bank_mask:0xf// 0000000089E4: 7E2402FA FF00B14E
	v_perm_b32 v54, v18, v78, v17                              // 0000000089EC: D1ED0036 04469D12
	v_mfma_f32_16x16x16_f16 v[204:207], v[128:129], v[166:167], v[204:207]// 0000000089F4: D3CD00CC 07334D80
	ds_write_b32 v20, v52 offset:17408                         // 0000000089FC: D81A4400 00003414
	ds_write_b32 v20, v53 offset:17952                         // 000000008A04: D81A4620 00003514
	v_mfma_f32_16x16x16_f16 v[208:211], v[130:131], v[166:167], v[208:211]// 000000008A0C: D3CD00D0 07434D82
	v_mov_b32_dpp v18, v79 quad_perm:[1,0,3,2] row_mask:0xf bank_mask:0xf// 000000008A14: 7E2402FA FF00B14F
	v_perm_b32 v55, v18, v79, v17                              // 000000008A1C: D1ED0037 04469F12
	v_mov_b32_dpp v18, v80 quad_perm:[1,0,3,2] row_mask:0xf bank_mask:0xf// 000000008A24: 7E2402FA FF00B150
	v_perm_b32 v56, v18, v80, v17                              // 000000008A2C: D1ED0038 0446A112
	v_mov_b32_dpp v18, v81 quad_perm:[1,0,3,2] row_mask:0xf bank_mask:0xf// 000000008A34: 7E2402FA FF00B151
	v_perm_b32 v57, v18, v81, v17                              // 000000008A3C: D1ED0039 0446A312
	v_mfma_f32_16x16x16_f16 v[212:215], v[124:125], v[168:169], v[212:215]// 000000008A44: D3CD00D4 0753517C
	ds_write_b32 v20, v54 offset:19712                         // 000000008A4C: D81A4D00 00003614
	ds_write_b32 v20, v55 offset:20256                         // 000000008A54: D81A4F20 00003714
	v_mfma_f32_16x16x16_f16 v[216:219], v[126:127], v[168:169], v[216:219]// 000000008A5C: D3CD00D8 0763517E
	v_subrev_f32_dpp v88, v177, v88 quad_perm:[0,0,0,0] row_mask:0xf bank_mask:0xf// 000000008A64: 06B0B0FA FF0000B1
	v_subrev_f32_dpp v89, v177, v89 quad_perm:[1,1,1,1] row_mask:0xf bank_mask:0xf// 000000008A6C: 06B2B2FA FF0055B1
	v_subrev_f32_dpp v90, v177, v90 quad_perm:[2,2,2,2] row_mask:0xf bank_mask:0xf// 000000008A74: 06B4B4FA FF00AAB1
	v_subrev_f32_dpp v91, v177, v91 quad_perm:[3,3,3,3] row_mask:0xf bank_mask:0xf// 000000008A7C: 06B6B6FA FF00FFB1
	v_subrev_f32_dpp v92, v177, v92 quad_perm:[0,0,0,0] row_mask:0xf bank_mask:0xf// 000000008A84: 06B8B8FA FF0000B1
	v_subrev_f32_dpp v93, v177, v93 quad_perm:[1,1,1,1] row_mask:0xf bank_mask:0xf// 000000008A8C: 06BABAFA FF0055B1
	v_mfma_f32_16x16x16_f16 v[220:223], v[128:129], v[168:169], v[220:223]// 000000008A94: D3CD00DC 07735180
	ds_write_b32 v20, v56 offset:22016                         // 000000008A9C: D81A5600 00003814
	ds_write_b32 v20, v57 offset:22560                         // 000000008AA4: D81A5820 00003914
	v_mfma_f32_16x16x16_f16 v[224:227], v[130:131], v[168:169], v[224:227]// 000000008AAC: D3CD00E0 07835182
	v_subrev_f32_dpp v94, v177, v94 quad_perm:[2,2,2,2] row_mask:0xf bank_mask:0xf// 000000008AB4: 06BCBCFA FF00AAB1
	v_subrev_f32_dpp v95, v177, v95 quad_perm:[3,3,3,3] row_mask:0xf bank_mask:0xf// 000000008ABC: 06BEBEFA FF00FFB1
	v_subrev_f32_dpp v96, v177, v96 quad_perm:[0,0,0,0] row_mask:0xf bank_mask:0xf// 000000008AC4: 06C0C0FA FF0000B1
	v_subrev_f32_dpp v97, v177, v97 quad_perm:[1,1,1,1] row_mask:0xf bank_mask:0xf// 000000008ACC: 06C2C2FA FF0055B1
	v_subrev_f32_dpp v98, v177, v98 quad_perm:[2,2,2,2] row_mask:0xf bank_mask:0xf// 000000008AD4: 06C4C4FA FF00AAB1
	v_subrev_f32_dpp v99, v177, v99 quad_perm:[3,3,3,3] row_mask:0xf bank_mask:0xf// 000000008ADC: 06C6C6FA FF00FFB1
	v_mfma_f32_16x16x16_f16 v[180:183], v[132:133], v[170:171], v[180:183]// 000000008AE4: D3CD00B4 06D35584
	v_mul_f32_e32 v88, v64, v88                                // 000000008AEC: 0AB0B140
	v_mul_f32_e32 v89, v65, v89                                // 000000008AF0: 0AB2B341
	v_mul_f32_e32 v90, v66, v90                                // 000000008AF4: 0AB4B542
	v_mul_f32_e32 v91, v67, v91                                // 000000008AF8: 0AB6B743
	v_mul_f32_e32 v92, v68, v92                                // 000000008AFC: 0AB8B944
	v_mul_f32_e32 v93, v69, v93                                // 000000008B00: 0ABABB45
	v_mfma_f32_16x16x16_f16 v[184:187], v[134:135], v[170:171], v[184:187]// 000000008B04: D3CD00B8 06E35586
	v_mul_f32_e32 v94, v70, v94                                // 000000008B0C: 0ABCBD46
	v_mul_f32_e32 v95, v71, v95                                // 000000008B10: 0ABEBF47
	v_mul_f32_e32 v96, v72, v96                                // 000000008B14: 0AC0C148
	v_mul_f32_e32 v97, v73, v97                                // 000000008B18: 0AC2C349
	v_mul_f32_e32 v98, v74, v98                                // 000000008B1C: 0AC4C54A
	v_mul_f32_e32 v99, v75, v99                                // 000000008B20: 0AC6C74B
	v_mfma_f32_16x16x16_f16 v[188:191], v[136:137], v[170:171], v[188:191]// 000000008B24: D3CD00BC 06F35588
	v_cvt_pkrtz_f16_f32 v82, v88, v89                          // 000000008B2C: D2960052 0002B358
	v_cvt_pkrtz_f16_f32 v83, v90, v91                          // 000000008B34: D2960053 0002B75A
	v_cvt_pkrtz_f16_f32 v84, v92, v93                          // 000000008B3C: D2960054 0002BB5C
	v_cvt_pkrtz_f16_f32 v85, v94, v95                          // 000000008B44: D2960055 0002BF5E
	v_cvt_pkrtz_f16_f32 v86, v96, v97                          // 000000008B4C: D2960056 0002C360
	v_cvt_pkrtz_f16_f32 v87, v98, v99                          // 000000008B54: D2960057 0002C762
	v_mfma_f32_16x16x16_f16 v[192:195], v[138:139], v[170:171], v[192:195]// 000000008B5C: D3CD00C0 0703558A
	v_mov_b32_dpp v18, v82 quad_perm:[1,0,3,2] row_mask:0xf bank_mask:0xf// 000000008B64: 7E2402FA FF00B152
	v_perm_b32 v58, v18, v82, v17                              // 000000008B6C: D1ED003A 0446A512
	v_mov_b32_dpp v18, v83 quad_perm:[1,0,3,2] row_mask:0xf bank_mask:0xf// 000000008B74: 7E2402FA FF00B153
	v_perm_b32 v59, v18, v83, v17                              // 000000008B7C: D1ED003B 0446A712
	v_mov_b32_dpp v18, v84 quad_perm:[1,0,3,2] row_mask:0xf bank_mask:0xf// 000000008B84: 7E2402FA FF00B154
	v_perm_b32 v60, v18, v84, v17                              // 000000008B8C: D1ED003C 0446A912
	v_mfma_f32_16x16x16_f16 v[196:199], v[132:133], v[172:173], v[196:199]// 000000008B94: D3CD00C4 07135984
	ds_write_b32 v20, v58 offset:24320                         // 000000008B9C: D81A5F00 00003A14
	ds_write_b32 v20, v59 offset:24864                         // 000000008BA4: D81A6120 00003B14
	v_mfma_f32_16x16x16_f16 v[200:203], v[134:135], v[172:173], v[200:203]// 000000008BAC: D3CD00C8 07235986
	v_mov_b32_dpp v18, v85 quad_perm:[1,0,3,2] row_mask:0xf bank_mask:0xf// 000000008BB4: 7E2402FA FF00B155
	v_perm_b32 v61, v18, v85, v17                              // 000000008BBC: D1ED003D 0446AB12
	v_mov_b32_dpp v18, v86 quad_perm:[1,0,3,2] row_mask:0xf bank_mask:0xf// 000000008BC4: 7E2402FA FF00B156
	v_perm_b32 v62, v18, v86, v17                              // 000000008BCC: D1ED003E 0446AD12
	v_mov_b32_dpp v18, v87 quad_perm:[1,0,3,2] row_mask:0xf bank_mask:0xf// 000000008BD4: 7E2402FA FF00B157
	v_perm_b32 v63, v18, v87, v17                              // 000000008BDC: D1ED003F 0446AF12
	v_mfma_f32_16x16x16_f16 v[204:207], v[136:137], v[172:173], v[204:207]// 000000008BE4: D3CD00CC 07335988
	ds_write_b32 v20, v60 offset:26624                         // 000000008BEC: D81A6800 00003C14
	ds_write_b32 v20, v61 offset:27168                         // 000000008BF4: D81A6A20 00003D14
	ds_write_b32 v20, v62 offset:28928                         // 000000008BFC: D81A7100 00003E14
	ds_write_b32 v20, v63 offset:29472                         // 000000008C04: D81A7320 00003F14
	v_mfma_f32_16x16x16_f16 v[208:211], v[138:139], v[172:173], v[208:211]// 000000008C0C: D3CD00D0 0743598A
	v_mfma_f32_16x16x16_f16 v[212:215], v[132:133], v[174:175], v[212:215]// 000000008C14: D3CD00D4 07535D84
	ds_write_b32 v15, v100 offset:4352                         // 000000008C1C: D81A1100 0000640F
	ds_write_b32 v15, v101 offset:5408                         // 000000008C24: D81A1520 0000650F
	v_mfma_f32_16x16x16_f16 v[216:219], v[134:135], v[174:175], v[216:219]// 000000008C2C: D3CD00D8 07635D86
	v_mfma_f32_16x16x16_f16 v[220:223], v[136:137], v[174:175], v[220:223]// 000000008C34: D3CD00DC 07735D88
	ds_write_b32 v15, v102 offset:6528                         // 000000008C3C: D81A1980 0000660F
	ds_write_b32 v15, v103 offset:7584                         // 000000008C44: D81A1DA0 0000670F
	v_mfma_f32_16x16x16_f16 v[224:227], v[138:139], v[174:175], v[224:227]// 000000008C4C: D3CD00E0 07835D8A
	s_nop 0                                                    // 000000008C54: BF800000
	s_nop 0                                                    // 000000008C58: BF800000
	s_nop 0                                                    // 000000008C5C: BF800000
	s_barrier                                                  // 000000008C60: BF8A0000
	v_mfma_f32_16x16x16_f16 a[112:115], a[96:97], v[76:77], a[112:115]// 000000008C64: D3CD8070 0DC29960
	ds_read_b32 v140, v23 offset:35584                         // 000000008C6C: D86C8B00 8C000017
	ds_read_b32 v144, v23 offset:35648                         // 000000008C74: D86C8B40 90000017
	ds_read_b32 v176, v23 offset:35840                         // 000000008C7C: D86C8C00 B0000017
	ds_read_b32 v177, v23 offset:35904                         // 000000008C84: D86C8C40 B1000017
	v_mfma_f32_16x16x16_f16 a[116:119], a[98:99], v[76:77], a[116:119]// 000000008C8C: D3CD8074 0DD29962
	buffer_atomic_pk_add_f16 v156, v7, s[32:35], 0 idxen       // 000000008C94: E1382000 80089C07
	v_mfma_f32_16x16x16_f16 a[120:123], a[100:101], v[76:77], a[120:123]// 000000008C9C: D3CD8078 0DE29964
	s_waitcnt lgkmcnt(8)                                       // 000000008CA4: BF8CC87F
	s_barrier                                                  // 000000008CA8: BF8A0000
	v_mfma_f32_16x16x16_f16 a[124:127], a[102:103], v[76:77], a[124:127]// 000000008CAC: D3CD807C 0DF29966
	v_mfma_f32_16x16x16_f16 a[128:131], a[96:97], v[78:79], a[128:131]// 000000008CB4: D3CD8080 0E029D60
	ds_read_b128 v[52:55], v19 offset:17408                    // 000000008CBC: D9FE4400 34000013
	v_mfma_f32_16x16x16_f16 a[132:135], a[98:99], v[78:79], a[132:135]// 000000008CC4: D3CD8084 0E129D62
	v_mfma_f32_16x16x16_f16 a[136:139], a[100:101], v[78:79], a[136:139]// 000000008CCC: D3CD8088 0E229D64
	ds_read_b128 v[56:59], v19 offset:18560                    // 000000008CD4: D9FE4880 38000013
	v_mfma_f32_16x16x16_f16 a[140:143], a[102:103], v[78:79], a[140:143]// 000000008CDC: D3CD808C 0E329D66
	buffer_atomic_pk_add_f16 v157, v8, s[32:35], 0 idxen       // 000000008CE4: E1382000 80089D08
	v_mfma_f32_16x16x16_f16 a[144:147], a[96:97], v[80:81], a[144:147]// 000000008CEC: D3CD8090 0E42A160
	ds_read_b128 v[60:63], v19 offset:19712                    // 000000008CF4: D9FE4D00 3C000013
	v_mfma_f32_16x16x16_f16 a[148:151], a[98:99], v[80:81], a[148:151]// 000000008CFC: D3CD8094 0E52A162
	v_mfma_f32_16x16x16_f16 a[152:155], a[100:101], v[80:81], a[152:155]// 000000008D04: D3CD8098 0E62A164
	ds_read_b128 v[64:67], v19 offset:20864                    // 000000008D0C: D9FE5180 40000013
	v_mfma_f32_16x16x16_f16 a[156:159], a[102:103], v[80:81], a[156:159]// 000000008D14: D3CD809C 0E72A166
	v_mfma_f32_16x16x16_f16 a[112:115], a[104:105], v[82:83], a[112:115]// 000000008D1C: D3CD8070 0DC2A568
	ds_read_b128 v[68:71], v19 offset:22016                    // 000000008D24: D9FE5600 44000013
	v_mfma_f32_16x16x16_f16 a[116:119], a[106:107], v[82:83], a[116:119]// 000000008D2C: D3CD8074 0DD2A56A
	buffer_atomic_pk_add_f16 v158, v9, s[32:35], 0 idxen       // 000000008D34: E1382000 80089E09
	v_mfma_f32_16x16x16_f16 a[120:123], a[108:109], v[82:83], a[120:123]// 000000008D3C: D3CD8078 0DE2A56C
	ds_read_b128 v[72:75], v19 offset:23168                    // 000000008D44: D9FE5A80 48000013
	v_mfma_f32_16x16x16_f16 a[124:127], a[110:111], v[82:83], a[124:127]// 000000008D4C: D3CD807C 0DF2A56E
	v_mfma_f32_16x16x16_f16 a[128:131], a[104:105], v[84:85], a[128:131]// 000000008D54: D3CD8080 0E02A968
	ds_write_b32 v15, v104 offset:13056                        // 000000008D5C: D81A3300 0000680F
	v_mfma_f32_16x16x16_f16 a[132:135], a[106:107], v[84:85], a[132:135]// 000000008D64: D3CD8084 0E12A96A
	v_mfma_f32_16x16x16_f16 a[136:139], a[108:109], v[84:85], a[136:139]// 000000008D6C: D3CD8088 0E22A96C
	ds_write_b32 v15, v105 offset:14112                        // 000000008D74: D81A3720 0000690F
	v_mfma_f32_16x16x16_f16 a[140:143], a[110:111], v[84:85], a[140:143]// 000000008D7C: D3CD808C 0E32A96E
	buffer_atomic_pk_add_f16 v159, v10, s[32:35], 0 idxen      // 000000008D84: E1382000 80089F0A
	v_mfma_f32_16x16x16_f16 a[144:147], a[104:105], v[86:87], a[144:147]// 000000008D8C: D3CD8090 0E42AD68
	ds_write_b32 v15, v106 offset:15232                        // 000000008D94: D81A3B80 00006A0F
	v_mfma_f32_16x16x16_f16 a[148:151], a[106:107], v[86:87], a[148:151]// 000000008D9C: D3CD8094 0E52AD6A
	v_mfma_f32_16x16x16_f16 a[152:155], a[108:109], v[86:87], a[152:155]// 000000008DA4: D3CD8098 0E62AD6C
	ds_write_b32 v15, v107 offset:16288                        // 000000008DAC: D81A3FA0 00006B0F
	v_mfma_f32_16x16x16_f16 a[156:159], a[110:111], v[86:87], a[156:159]// 000000008DB4: D3CD809C 0E72AD6E
	s_waitcnt vmcnt(4) lgkmcnt(4)                              // 000000008DBC: BF8C0474
	s_barrier                                                  // 000000008DC0: BF8A0000
	v_mfma_f32_16x16x16_f16 v[148:151], a[24:25], v[52:53], 0  // 000000008DC4: D3CD0094 0A026918
	ds_read_b128 a[96:99], v12                                 // 000000008DCC: DBFE0000 6000000C
	buffer_load_dword v36, v1, s[8:11], 0 idxen                // 000000008DD4: E0502000 80022401
	v_mfma_f32_16x16x16_f16 v[148:151], a[28:29], v[54:55], v[148:151]// 000000008DDC: D3CD0094 0E526D1C
	v_mul_f32_e32 v140, s49, v140                              // 000000008DE4: 0B191831
	v_mul_f32_e32 v144, s49, v144                              // 000000008DE8: 0B212031
	s_nop 0                                                    // 000000008DEC: BF800000
	v_mfma_f32_16x16x16_f16 v[148:151], a[32:33], v[56:57], v[148:151]// 000000008DF0: D3CD0094 0E527120
	ds_read_b128 a[100:103], v12 offset:512                    // 000000008DF8: DBFE0200 6400000C
	buffer_load_dword v37, v2, s[8:11], 0 idxen                // 000000008E00: E0502000 80022502
	v_mfma_f32_16x16x16_f16 v[148:151], a[36:37], v[58:59], v[148:151]// 000000008E08: D3CD0094 0E527524
	v_mfma_f32_16x16x16_f16 v[148:151], a[40:41], v[60:61], v[148:151]// 000000008E10: D3CD0094 0E527928
	ds_read_b128 a[104:107], v12 offset:2176                   // 000000008E18: DBFE0880 6800000C
	buffer_load_dword v38, v3, s[8:11], 0 idxen                // 000000008E20: E0502000 80022603
	v_mfma_f32_16x16x16_f16 v[148:151], a[44:45], v[62:63], v[148:151]// 000000008E28: D3CD0094 0E527D2C
	v_perm_b32 v100, v41, v40, s63                             // 000000008E30: D1ED0064 00FE5129
	v_perm_b32 v101, v41, v40, s64                             // 000000008E38: D1ED0065 01025129
	v_mfma_f32_16x16x16_f16 v[148:151], a[48:49], v[64:65], v[148:151]// 000000008E40: D3CD0094 0E528130
	ds_read_b128 a[108:111], v12 offset:2688                   // 000000008E48: DBFE0A80 6C00000C
	buffer_load_dword v39, v4, s[8:11], 0 idxen                // 000000008E50: E0502000 80022704
	v_mfma_f32_16x16x16_f16 v[148:151], a[52:53], v[66:67], v[148:151]// 000000008E58: D3CD0094 0E528534
	v_perm_b32 v102, v43, v42, s63                             // 000000008E60: D1ED0066 00FE552B
	v_perm_b32 v103, v43, v42, s64                             // 000000008E68: D1ED0067 0102552B
	v_mfma_f32_16x16x16_f16 v[148:151], a[56:57], v[68:69], v[148:151]// 000000008E70: D3CD0094 0E528938
	ds_read_b128 v[108:111], v12 offset:8704                   // 000000008E78: D9FE2200 6C00000C
	buffer_load_dword v44, v1, s[20:23], 0 idxen               // 000000008E80: E0502000 80052C01
	v_mfma_f32_16x16x16_f16 v[148:151], a[60:61], v[70:71], v[148:151]// 000000008E88: D3CD0094 0E528D3C
	v_perm_b32 v104, v49, v48, s63                             // 000000008E90: D1ED0068 00FE6131
	v_perm_b32 v105, v49, v48, s64                             // 000000008E98: D1ED0069 01026131
	v_mfma_f32_16x16x16_f16 v[148:151], a[64:65], v[72:73], v[148:151]// 000000008EA0: D3CD0094 0E529140
	ds_read_b128 v[112:115], v12 offset:9216                   // 000000008EA8: D9FE2400 7000000C
	buffer_load_dword v45, v2, s[20:23], 0 idxen               // 000000008EB0: E0502000 80052D02
	v_mfma_f32_16x16x16_f16 v[148:151], a[68:69], v[74:75], v[148:151]// 000000008EB8: D3CD0094 0E529544
	v_perm_b32 v106, v51, v50, s63                             // 000000008EC0: D1ED006A 00FE6533
	v_perm_b32 v107, v51, v50, s64                             // 000000008EC8: D1ED006B 01026533
	v_mfma_f32_16x16x16_f16 v[152:155], a[26:27], v[52:53], 0  // 000000008ED0: D3CD0098 0A02691A
	ds_read_b128 v[116:119], v12 offset:10880                  // 000000008ED8: D9FE2A80 7400000C
	buffer_load_dword v46, v3, s[20:23], 0 idxen               // 000000008EE0: E0502000 80052E03
	v_mfma_f32_16x16x16_f16 v[152:155], a[30:31], v[54:55], v[152:155]// 000000008EE8: D3CD0098 0E626D1E
	v_mov_b32_dpp v143, v140 quad_perm:[3,3,3,3] row_mask:0xf bank_mask:0xf// 000000008EF0: 7F1E02FA FF00FF8C
	v_mov_b32_dpp v142, v140 quad_perm:[2,2,2,2] row_mask:0xf bank_mask:0xf// 000000008EF8: 7F1C02FA FF00AA8C
	v_mov_b32_dpp v141, v140 quad_perm:[1,1,1,1] row_mask:0xf bank_mask:0xf// 000000008F00: 7F1A02FA FF00558C
	v_mov_b32_dpp v140, v140 quad_perm:[0,0,0,0] row_mask:0xf bank_mask:0xf// 000000008F08: 7F1802FA FF00008C
	v_mfma_f32_16x16x16_f16 v[152:155], a[34:35], v[56:57], v[152:155]// 000000008F10: D3CD0098 0E627122
	ds_read_b128 v[120:123], v12 offset:11392                  // 000000008F18: D9FE2C80 7800000C
	buffer_load_dword v47, v4, s[20:23], 0 idxen               // 000000008F20: E0502000 80052F04
	v_mfma_f32_16x16x16_f16 v[152:155], a[38:39], v[58:59], v[152:155]// 000000008F28: D3CD0098 0E627526
	v_mov_b32_dpp v147, v144 quad_perm:[3,3,3,3] row_mask:0xf bank_mask:0xf// 000000008F30: 7F2602FA FF00FF90
	v_mov_b32_dpp v146, v144 quad_perm:[2,2,2,2] row_mask:0xf bank_mask:0xf// 000000008F38: 7F2402FA FF00AA90
	v_mov_b32_dpp v145, v144 quad_perm:[1,1,1,1] row_mask:0xf bank_mask:0xf// 000000008F40: 7F2202FA FF005590
	v_mov_b32_dpp v144, v144 quad_perm:[0,0,0,0] row_mask:0xf bank_mask:0xf// 000000008F48: 7F2002FA FF000090
	s_add_u32 s60, 0x80, s59                                   // 000000008F50: 803C3BFF 00000080
	v_mfma_f32_16x16x16_f16 v[152:155], a[42:43], v[60:61], v[152:155]// 000000008F58: D3CD0098 0E62792A
	buffer_load_dword v11, s[24:27], 0 idxen lds               // 000000008F60: E0512000 8006000B
	v_mfma_f32_16x16x16_f16 v[152:155], a[46:47], v[62:63], v[152:155]// 000000008F68: D3CD0098 0E627D2E
	s_cmp_lt_u32 s60, s58                                      // 000000008F70: BF0A3A3C
	s_cselect_b32 s68, s68, 0                                  // 000000008F74: 85448044
	s_cselect_b32 s69, s69, 0                                  // 000000008F78: 85458045
	v_mfma_f32_16x16x16_f16 v[152:155], a[50:51], v[64:65], v[152:155]// 000000008F7C: D3CD0098 0E628132
	s_add_u32 s8, s68, s8                                      // 000000008F84: 80080844
	s_addc_u32 s9, 0, s9                                       // 000000008F88: 82090980
	v_mfma_f32_16x16x16_f16 v[152:155], a[54:55], v[66:67], v[152:155]// 000000008F8C: D3CD0098 0E628536
	s_add_u32 s20, s68, s20                                    // 000000008F94: 80141444
	s_addc_u32 s21, 0, s21                                     // 000000008F98: 82151580
	v_mfma_f32_16x16x16_f16 v[152:155], a[58:59], v[68:69], v[152:155]// 000000008F9C: D3CD0098 0E62893A
	s_mov_b32 m0, s79                                          // 000000008FA4: BEFC004F
	v_add_u32_e32 v11, s69, v11                                // 000000008FA8: 68161645
	v_mfma_f32_16x16x16_f16 v[152:155], a[62:63], v[70:71], v[152:155]// 000000008FAC: D3CD0098 0E628D3E
	s_cmp_ge_u32 s59, s73                                      // 000000008FB4: BF09493B
	s_cselect_b32 s66, s67, s66                                // 000000008FB8: 85424243
	v_mfma_f32_16x16x16_f16 v[152:155], a[66:67], v[72:73], v[152:155]// 000000008FBC: D3CD0098 0E629142
	s_addk_i32 s59, 0x20                                       // 000000008FC4: B73B0020
	s_nop 0                                                    // 000000008FC8: BF800000
	s_cmp_lt_i32 s59, s58                                      // 000000008FCC: BF043A3B
	v_mfma_f32_16x16x16_f16 v[152:155], a[70:71], v[74:75], v[152:155]// 000000008FD0: D3CD0098 0E629546
	s_cbranch_scc0 label_0D16                                  // 000000008FD8: BF84F89F
	s_branch label_0D19                                        // 000000008FDC: BF82F8A1

0000000000008fe0 <label_1478>:
	s_add_u32 s32, s66, s32                                    // 000000008FE0: 80202042
	s_addc_u32 s33, 0, s33                                     // 000000008FE4: 82212180
	v_lshrrev_b32_e32 v32, 5, v0                               // 000000008FE8: 20400085
	v_mul_i32_i24_e32 v27, 0x44, v32                           // 000000008FEC: 0C3640FF 00000044
	v_and_b32_e32 v32, 31, v0                                  // 000000008FF4: 2640009F
	v_mul_i32_i24_e32 v33, 2, v32                              // 000000008FF8: 0C424082
	v_add_u32_e32 v27, v33, v27                                // 000000008FFC: 68363721
	s_mul_i32 s60, s47, 0x220                                  // 000000009000: 923CFF2F 00000220
	v_add_u32_e32 v27, s60, v27                                // 000000009008: 6836363C
	v_lshlrev_b32_e32 v27, 2, v27                              // 00000000900C: 24363682
	v_mul_f32_e32 v148, s48, v148                              // 000000009010: 0B292830
	v_mul_f32_e32 v149, s48, v149                              // 000000009014: 0B2B2A30
	v_mul_f32_e32 v150, s48, v150                              // 000000009018: 0B2D2C30
	v_mul_f32_e32 v151, s48, v151                              // 00000000901C: 0B2F2E30
	v_mul_f32_e32 v152, s48, v152                              // 000000009020: 0B313030
	v_mul_f32_e32 v153, s48, v153                              // 000000009024: 0B333230
	v_mul_f32_e32 v154, s48, v154                              // 000000009028: 0B353430
	v_mul_f32_e32 v155, s48, v155                              // 00000000902C: 0B373630
	v_cvt_pkrtz_f16_f32 v148, v148, v149                       // 000000009030: D2960094 00032B94
	v_cvt_pkrtz_f16_f32 v149, v150, v151                       // 000000009038: D2960095 00032F96
	v_cvt_pkrtz_f16_f32 v150, v152, v153                       // 000000009040: D2960096 00033398
	v_cvt_pkrtz_f16_f32 v151, v154, v155                       // 000000009048: D2960097 0003379A
	ds_write_b64 v22, v[148:149] offset:31232                  // 000000009050: D89A7A00 00009416
	ds_write_b64 v22, v[150:151] offset:31776                  // 000000009058: D89A7C20 00009616
	s_waitcnt lgkmcnt(0)                                       // 000000009060: BF8CC07F
	s_barrier                                                  // 000000009064: BF8A0000
	ds_read_b32 v156, v21 offset:31232                         // 000000009068: D86C7A00 9C000015
	ds_read_b32 v157, v21 offset:31248                         // 000000009070: D86C7A10 9D000015
	ds_read_b32 v158, v21 offset:31264                         // 000000009078: D86C7A20 9E000015
	ds_read_b32 v159, v21 offset:31280                         // 000000009080: D86C7A30 9F000015
	s_waitcnt lgkmcnt(0)                                       // 000000009088: BF8CC07F
	s_barrier                                                  // 00000000908C: BF8A0000
	buffer_atomic_pk_add_f16 v156, v7, s[32:35], 0 idxen       // 000000009090: E1382000 80089C07
	buffer_atomic_pk_add_f16 v157, v8, s[32:35], 0 idxen       // 000000009098: E1382000 80089D08
	buffer_atomic_pk_add_f16 v158, v9, s[32:35], 0 idxen       // 0000000090A0: E1382000 80089E09
	buffer_atomic_pk_add_f16 v159, v10, s[32:35], 0 idxen      // 0000000090A8: E1382000 80089F0A
	v_lshrrev_b32_e32 v32, 3, v0                               // 0000000090B0: 20400083
	v_mul_i32_i24_e32 v26, 2, v32                              // 0000000090B4: 0C344082
	v_and_b32_e32 v32, 7, v0                                   // 0000000090B8: 26400087
	v_mul_i32_i24_e32 v33, 0x44, v32                           // 0000000090BC: 0C4240FF 00000044
	v_add_u32_e32 v26, v33, v26                                // 0000000090C4: 68343521
	s_mul_i32 s60, s47, 0x220                                  // 0000000090C8: 923CFF2F 00000220
	v_add_u32_e32 v26, s60, v26                                // 0000000090D0: 6834343C
	v_lshlrev_b32_e32 v26, 2, v26                              // 0000000090D4: 24343482
	v_accvgpr_read_b32 v32, a112                               // 0000000090D8: D3D84020 18000170
	v_accvgpr_read_b32 v33, a113                               // 0000000090E0: D3D84021 18000171
	v_mul_f32_e32 v32, s48, v32                                // 0000000090E8: 0A404030
	v_mul_f32_e32 v33, s48, v33                                // 0000000090EC: 0A424230
	v_cvt_pkrtz_f16_f32 v52, v32, v33                          // 0000000090F0: D2960034 00024320
	v_accvgpr_read_b32 v32, a114                               // 0000000090F8: D3D84020 18000172
	v_accvgpr_read_b32 v33, a115                               // 000000009100: D3D84021 18000173
	v_mul_f32_e32 v32, s48, v32                                // 000000009108: 0A404030
	v_mul_f32_e32 v33, s48, v33                                // 00000000910C: 0A424230
	v_cvt_pkrtz_f16_f32 v53, v32, v33                          // 000000009110: D2960035 00024320
	v_accvgpr_read_b32 v32, a116                               // 000000009118: D3D84020 18000174
	v_accvgpr_read_b32 v33, a117                               // 000000009120: D3D84021 18000175
	v_mul_f32_e32 v32, s48, v32                                // 000000009128: 0A404030
	v_mul_f32_e32 v33, s48, v33                                // 00000000912C: 0A424230
	v_cvt_pkrtz_f16_f32 v54, v32, v33                          // 000000009130: D2960036 00024320
	v_accvgpr_read_b32 v32, a118                               // 000000009138: D3D84020 18000176
	v_accvgpr_read_b32 v33, a119                               // 000000009140: D3D84021 18000177
	v_mul_f32_e32 v32, s48, v32                                // 000000009148: 0A404030
	v_mul_f32_e32 v33, s48, v33                                // 00000000914C: 0A424230
	v_cvt_pkrtz_f16_f32 v55, v32, v33                          // 000000009150: D2960037 00024320
	v_accvgpr_read_b32 v32, a120                               // 000000009158: D3D84020 18000178
	v_accvgpr_read_b32 v33, a121                               // 000000009160: D3D84021 18000179
	v_mul_f32_e32 v32, s48, v32                                // 000000009168: 0A404030
	v_mul_f32_e32 v33, s48, v33                                // 00000000916C: 0A424230
	v_cvt_pkrtz_f16_f32 v56, v32, v33                          // 000000009170: D2960038 00024320
	v_accvgpr_read_b32 v32, a122                               // 000000009178: D3D84020 1800017A
	v_accvgpr_read_b32 v33, a123                               // 000000009180: D3D84021 1800017B
	v_mul_f32_e32 v32, s48, v32                                // 000000009188: 0A404030
	v_mul_f32_e32 v33, s48, v33                                // 00000000918C: 0A424230
	v_cvt_pkrtz_f16_f32 v57, v32, v33                          // 000000009190: D2960039 00024320
	v_accvgpr_read_b32 v32, a124                               // 000000009198: D3D84020 1800017C
	v_accvgpr_read_b32 v33, a125                               // 0000000091A0: D3D84021 1800017D
	v_mul_f32_e32 v32, s48, v32                                // 0000000091A8: 0A404030
	v_mul_f32_e32 v33, s48, v33                                // 0000000091AC: 0A424230
	v_cvt_pkrtz_f16_f32 v58, v32, v33                          // 0000000091B0: D296003A 00024320
	v_accvgpr_read_b32 v32, a126                               // 0000000091B8: D3D84020 1800017E
	v_accvgpr_read_b32 v33, a127                               // 0000000091C0: D3D84021 1800017F
	v_mul_f32_e32 v32, s48, v32                                // 0000000091C8: 0A404030
	v_mul_f32_e32 v33, s48, v33                                // 0000000091CC: 0A424230
	v_cvt_pkrtz_f16_f32 v59, v32, v33                          // 0000000091D0: D296003B 00024320
	ds_write_b64 v27, v[52:53]                                 // 0000000091D8: D89A0000 0000341B
	ds_write_b64 v27, v[54:55] offset:544                      // 0000000091E0: D89A0220 0000361B
	ds_write_b64 v27, v[56:57] offset:1088                     // 0000000091E8: D89A0440 0000381B
	ds_write_b64 v27, v[58:59] offset:1632                     // 0000000091F0: D89A0660 00003A1B
	s_waitcnt lgkmcnt(0)                                       // 0000000091F8: BF8CC07F
	s_barrier                                                  // 0000000091FC: BF8A0000
	ds_read_b64 v[52:53], v26                                  // 000000009200: D8EC0000 3400001A
	ds_read_b64 v[54:55], v26 offset:128                       // 000000009208: D8EC0080 3600001A
	ds_read_b64 v[56:57], v26 offset:64                        // 000000009210: D8EC0040 3800001A
	ds_read_b64 v[58:59], v26 offset:192                       // 000000009218: D8EC00C0 3A00001A
	s_waitcnt lgkmcnt(0)                                       // 000000009220: BF8CC07F
	buffer_store_dwordx4 v[52:55], v5, s[36:39], 0 idxen       // 000000009224: E07C2000 80093405
	s_mul_i32 s60, 2, s46                                      // 00000000922C: 923C2E82
	v_add_u32_e32 v5, s60, v5                                  // 000000009230: 680A0A3C
	buffer_store_dwordx4 v[56:59], v5, s[36:39], 0 idxen       // 000000009234: E07C2000 80093805
	s_mul_i32 s60, 2, s46                                      // 00000000923C: 923C2E82
	v_add_u32_e32 v5, s60, v5                                  // 000000009240: 680A0A3C
	s_mul_i32 s60, 12, s46                                     // 000000009244: 923C2E8C
	v_add_u32_e32 v5, s60, v5                                  // 000000009248: 680A0A3C
	s_barrier                                                  // 00000000924C: BF8A0000
	s_cmp_ge_i32 1, s72                                        // 000000009250: BF034881
	s_cbranch_scc1 label_15D6                                  // 000000009254: BF8500C0
	v_accvgpr_read_b32 v32, a128                               // 000000009258: D3D84020 18000180
	v_accvgpr_read_b32 v33, a129                               // 000000009260: D3D84021 18000181
	v_mul_f32_e32 v32, s48, v32                                // 000000009268: 0A404030
	v_mul_f32_e32 v33, s48, v33                                // 00000000926C: 0A424230
	v_cvt_pkrtz_f16_f32 v60, v32, v33                          // 000000009270: D296003C 00024320
	v_accvgpr_read_b32 v32, a130                               // 000000009278: D3D84020 18000182
	v_accvgpr_read_b32 v33, a131                               // 000000009280: D3D84021 18000183
	v_mul_f32_e32 v32, s48, v32                                // 000000009288: 0A404030
	v_mul_f32_e32 v33, s48, v33                                // 00000000928C: 0A424230
	v_cvt_pkrtz_f16_f32 v61, v32, v33                          // 000000009290: D296003D 00024320
	v_accvgpr_read_b32 v32, a132                               // 000000009298: D3D84020 18000184
	v_accvgpr_read_b32 v33, a133                               // 0000000092A0: D3D84021 18000185
	v_mul_f32_e32 v32, s48, v32                                // 0000000092A8: 0A404030
	v_mul_f32_e32 v33, s48, v33                                // 0000000092AC: 0A424230
	v_cvt_pkrtz_f16_f32 v62, v32, v33                          // 0000000092B0: D296003E 00024320
	v_accvgpr_read_b32 v32, a134                               // 0000000092B8: D3D84020 18000186
	v_accvgpr_read_b32 v33, a135                               // 0000000092C0: D3D84021 18000187
	v_mul_f32_e32 v32, s48, v32                                // 0000000092C8: 0A404030
	v_mul_f32_e32 v33, s48, v33                                // 0000000092CC: 0A424230
	v_cvt_pkrtz_f16_f32 v63, v32, v33                          // 0000000092D0: D296003F 00024320
	v_accvgpr_read_b32 v32, a136                               // 0000000092D8: D3D84020 18000188
	v_accvgpr_read_b32 v33, a137                               // 0000000092E0: D3D84021 18000189
	v_mul_f32_e32 v32, s48, v32                                // 0000000092E8: 0A404030
	v_mul_f32_e32 v33, s48, v33                                // 0000000092EC: 0A424230
	v_cvt_pkrtz_f16_f32 v64, v32, v33                          // 0000000092F0: D2960040 00024320
	v_accvgpr_read_b32 v32, a138                               // 0000000092F8: D3D84020 1800018A
	v_accvgpr_read_b32 v33, a139                               // 000000009300: D3D84021 1800018B
	v_mul_f32_e32 v32, s48, v32                                // 000000009308: 0A404030
	v_mul_f32_e32 v33, s48, v33                                // 00000000930C: 0A424230
	v_cvt_pkrtz_f16_f32 v65, v32, v33                          // 000000009310: D2960041 00024320
	v_accvgpr_read_b32 v32, a140                               // 000000009318: D3D84020 1800018C
	v_accvgpr_read_b32 v33, a141                               // 000000009320: D3D84021 1800018D
	v_mul_f32_e32 v32, s48, v32                                // 000000009328: 0A404030
	v_mul_f32_e32 v33, s48, v33                                // 00000000932C: 0A424230
	v_cvt_pkrtz_f16_f32 v66, v32, v33                          // 000000009330: D2960042 00024320
	v_accvgpr_read_b32 v32, a142                               // 000000009338: D3D84020 1800018E
	v_accvgpr_read_b32 v33, a143                               // 000000009340: D3D84021 1800018F
	v_mul_f32_e32 v32, s48, v32                                // 000000009348: 0A404030
	v_mul_f32_e32 v33, s48, v33                                // 00000000934C: 0A424230
	v_cvt_pkrtz_f16_f32 v67, v32, v33                          // 000000009350: D2960043 00024320
	ds_write_b64 v27, v[60:61] offset:8704                     // 000000009358: D89A2200 00003C1B
	ds_write_b64 v27, v[62:63] offset:9248                     // 000000009360: D89A2420 00003E1B
	ds_write_b64 v27, v[64:65] offset:9792                     // 000000009368: D89A2640 0000401B
	ds_write_b64 v27, v[66:67] offset:10336                    // 000000009370: D89A2860 0000421B
	s_waitcnt lgkmcnt(0)                                       // 000000009378: BF8CC07F
	s_barrier                                                  // 00000000937C: BF8A0000
	ds_read_b64 v[60:61], v26 offset:8704                      // 000000009380: D8EC2200 3C00001A
	ds_read_b64 v[62:63], v26 offset:8832                      // 000000009388: D8EC2280 3E00001A
	ds_read_b64 v[64:65], v26 offset:8768                      // 000000009390: D8EC2240 4000001A
	ds_read_b64 v[66:67], v26 offset:8896                      // 000000009398: D8EC22C0 4200001A
	s_waitcnt lgkmcnt(0)                                       // 0000000093A0: BF8CC07F
	buffer_store_dwordx4 v[60:63], v5, s[36:39], 0 idxen       // 0000000093A4: E07C2000 80093C05
	s_mul_i32 s60, 2, s46                                      // 0000000093AC: 923C2E82
	v_add_u32_e32 v5, s60, v5                                  // 0000000093B0: 680A0A3C
	buffer_store_dwordx4 v[64:67], v5, s[36:39], 0 idxen       // 0000000093B4: E07C2000 80094005
	s_mul_i32 s60, 2, s46                                      // 0000000093BC: 923C2E82
	v_add_u32_e32 v5, s60, v5                                  // 0000000093C0: 680A0A3C
	s_mul_i32 s60, 12, s46                                     // 0000000093C4: 923C2E8C
	v_add_u32_e32 v5, s60, v5                                  // 0000000093C8: 680A0A3C
	s_barrier                                                  // 0000000093CC: BF8A0000
	s_cmp_ge_i32 2, s72                                        // 0000000093D0: BF034882
	s_cbranch_scc1 label_15D6                                  // 0000000093D4: BF850060
	v_accvgpr_read_b32 v32, a144                               // 0000000093D8: D3D84020 18000190
	v_accvgpr_read_b32 v33, a145                               // 0000000093E0: D3D84021 18000191
	v_mul_f32_e32 v32, s48, v32                                // 0000000093E8: 0A404030
	v_mul_f32_e32 v33, s48, v33                                // 0000000093EC: 0A424230
	v_cvt_pkrtz_f16_f32 v68, v32, v33                          // 0000000093F0: D2960044 00024320
	v_accvgpr_read_b32 v32, a146                               // 0000000093F8: D3D84020 18000192
	v_accvgpr_read_b32 v33, a147                               // 000000009400: D3D84021 18000193
	v_mul_f32_e32 v32, s48, v32                                // 000000009408: 0A404030
	v_mul_f32_e32 v33, s48, v33                                // 00000000940C: 0A424230
	v_cvt_pkrtz_f16_f32 v69, v32, v33                          // 000000009410: D2960045 00024320
	v_accvgpr_read_b32 v32, a148                               // 000000009418: D3D84020 18000194
	v_accvgpr_read_b32 v33, a149                               // 000000009420: D3D84021 18000195
	v_mul_f32_e32 v32, s48, v32                                // 000000009428: 0A404030
	v_mul_f32_e32 v33, s48, v33                                // 00000000942C: 0A424230
	v_cvt_pkrtz_f16_f32 v70, v32, v33                          // 000000009430: D2960046 00024320
	v_accvgpr_read_b32 v32, a150                               // 000000009438: D3D84020 18000196
	v_accvgpr_read_b32 v33, a151                               // 000000009440: D3D84021 18000197
	v_mul_f32_e32 v32, s48, v32                                // 000000009448: 0A404030
	v_mul_f32_e32 v33, s48, v33                                // 00000000944C: 0A424230
	v_cvt_pkrtz_f16_f32 v71, v32, v33                          // 000000009450: D2960047 00024320
	v_accvgpr_read_b32 v32, a152                               // 000000009458: D3D84020 18000198
	v_accvgpr_read_b32 v33, a153                               // 000000009460: D3D84021 18000199
	v_mul_f32_e32 v32, s48, v32                                // 000000009468: 0A404030
	v_mul_f32_e32 v33, s48, v33                                // 00000000946C: 0A424230
	v_cvt_pkrtz_f16_f32 v72, v32, v33                          // 000000009470: D2960048 00024320
	v_accvgpr_read_b32 v32, a154                               // 000000009478: D3D84020 1800019A
	v_accvgpr_read_b32 v33, a155                               // 000000009480: D3D84021 1800019B
	v_mul_f32_e32 v32, s48, v32                                // 000000009488: 0A404030
	v_mul_f32_e32 v33, s48, v33                                // 00000000948C: 0A424230
	v_cvt_pkrtz_f16_f32 v73, v32, v33                          // 000000009490: D2960049 00024320
	v_accvgpr_read_b32 v32, a156                               // 000000009498: D3D84020 1800019C
	v_accvgpr_read_b32 v33, a157                               // 0000000094A0: D3D84021 1800019D
	v_mul_f32_e32 v32, s48, v32                                // 0000000094A8: 0A404030
	v_mul_f32_e32 v33, s48, v33                                // 0000000094AC: 0A424230
	v_cvt_pkrtz_f16_f32 v74, v32, v33                          // 0000000094B0: D296004A 00024320
	v_accvgpr_read_b32 v32, a158                               // 0000000094B8: D3D84020 1800019E
	v_accvgpr_read_b32 v33, a159                               // 0000000094C0: D3D84021 1800019F
	v_mul_f32_e32 v32, s48, v32                                // 0000000094C8: 0A404030
	v_mul_f32_e32 v33, s48, v33                                // 0000000094CC: 0A424230
	v_cvt_pkrtz_f16_f32 v75, v32, v33                          // 0000000094D0: D296004B 00024320
	ds_write_b64 v27, v[68:69] offset:17408                    // 0000000094D8: D89A4400 0000441B
	ds_write_b64 v27, v[70:71] offset:17952                    // 0000000094E0: D89A4620 0000461B
	ds_write_b64 v27, v[72:73] offset:18496                    // 0000000094E8: D89A4840 0000481B
	ds_write_b64 v27, v[74:75] offset:19040                    // 0000000094F0: D89A4A60 00004A1B
	s_waitcnt lgkmcnt(0)                                       // 0000000094F8: BF8CC07F
	s_barrier                                                  // 0000000094FC: BF8A0000
	ds_read_b64 v[68:69], v26 offset:17408                     // 000000009500: D8EC4400 4400001A
	ds_read_b64 v[70:71], v26 offset:17536                     // 000000009508: D8EC4480 4600001A
	ds_read_b64 v[72:73], v26 offset:17472                     // 000000009510: D8EC4440 4800001A
	ds_read_b64 v[74:75], v26 offset:17600                     // 000000009518: D8EC44C0 4A00001A
	s_waitcnt lgkmcnt(0)                                       // 000000009520: BF8CC07F
	buffer_store_dwordx4 v[68:71], v5, s[36:39], 0 idxen       // 000000009524: E07C2000 80094405
	s_mul_i32 s60, 2, s46                                      // 00000000952C: 923C2E82
	v_add_u32_e32 v5, s60, v5                                  // 000000009530: 680A0A3C
	buffer_store_dwordx4 v[72:75], v5, s[36:39], 0 idxen       // 000000009534: E07C2000 80094805
	s_mul_i32 s60, 2, s46                                      // 00000000953C: 923C2E82
	v_add_u32_e32 v5, s60, v5                                  // 000000009540: 680A0A3C
	s_mul_i32 s60, 12, s46                                     // 000000009544: 923C2E8C
	v_add_u32_e32 v5, s60, v5                                  // 000000009548: 680A0A3C
	s_barrier                                                  // 00000000954C: BF8A0000
	s_cmp_ge_i32 3, s72                                        // 000000009550: BF034883
	s_cbranch_scc1 label_15D6                                  // 000000009554: BF850000

0000000000009558 <label_15D6>:
	v_mov_b32_e32 v32, v180                                    // 000000009558: 7E4003B4
	v_mov_b32_e32 v33, v181                                    // 00000000955C: 7E4203B5
	v_cvt_pkrtz_f16_f32 v180, v32, v33                         // 000000009560: D29600B4 00024320
	v_mov_b32_e32 v32, v182                                    // 000000009568: 7E4003B6
	v_mov_b32_e32 v33, v183                                    // 00000000956C: 7E4203B7
	v_cvt_pkrtz_f16_f32 v181, v32, v33                         // 000000009570: D29600B5 00024320
	v_mov_b32_e32 v32, v184                                    // 000000009578: 7E4003B8
	v_mov_b32_e32 v33, v185                                    // 00000000957C: 7E4203B9
	v_cvt_pkrtz_f16_f32 v182, v32, v33                         // 000000009580: D29600B6 00024320
	v_mov_b32_e32 v32, v186                                    // 000000009588: 7E4003BA
	v_mov_b32_e32 v33, v187                                    // 00000000958C: 7E4203BB
	v_cvt_pkrtz_f16_f32 v183, v32, v33                         // 000000009590: D29600B7 00024320
	v_mov_b32_e32 v32, v188                                    // 000000009598: 7E4003BC
	v_mov_b32_e32 v33, v189                                    // 00000000959C: 7E4203BD
	v_cvt_pkrtz_f16_f32 v184, v32, v33                         // 0000000095A0: D29600B8 00024320
	v_mov_b32_e32 v32, v190                                    // 0000000095A8: 7E4003BE
	v_mov_b32_e32 v33, v191                                    // 0000000095AC: 7E4203BF
	v_cvt_pkrtz_f16_f32 v185, v32, v33                         // 0000000095B0: D29600B9 00024320
	v_mov_b32_e32 v32, v192                                    // 0000000095B8: 7E4003C0
	v_mov_b32_e32 v33, v193                                    // 0000000095BC: 7E4203C1
	v_cvt_pkrtz_f16_f32 v186, v32, v33                         // 0000000095C0: D29600BA 00024320
	v_mov_b32_e32 v32, v194                                    // 0000000095C8: 7E4003C2
	v_mov_b32_e32 v33, v195                                    // 0000000095CC: 7E4203C3
	v_cvt_pkrtz_f16_f32 v187, v32, v33                         // 0000000095D0: D29600BB 00024320
	ds_write_b64 v27, v[180:181]                               // 0000000095D8: D89A0000 0000B41B
	ds_write_b64 v27, v[182:183] offset:544                    // 0000000095E0: D89A0220 0000B61B
	ds_write_b64 v27, v[184:185] offset:1088                   // 0000000095E8: D89A0440 0000B81B
	ds_write_b64 v27, v[186:187] offset:1632                   // 0000000095F0: D89A0660 0000BA1B
	s_waitcnt lgkmcnt(0)                                       // 0000000095F8: BF8CC07F
	s_barrier                                                  // 0000000095FC: BF8A0000
	ds_read_b64 v[180:181], v26                                // 000000009600: D8EC0000 B400001A
	ds_read_b64 v[182:183], v26 offset:128                     // 000000009608: D8EC0080 B600001A
	ds_read_b64 v[184:185], v26 offset:64                      // 000000009610: D8EC0040 B800001A
	ds_read_b64 v[186:187], v26 offset:192                     // 000000009618: D8EC00C0 BA00001A
	s_waitcnt lgkmcnt(0)                                       // 000000009620: BF8CC07F
	buffer_store_dwordx4 v[180:183], v6, s[40:43], 0 idxen     // 000000009624: E07C2000 800AB406
	s_mul_i32 s60, 2, s46                                      // 00000000962C: 923C2E82
	v_add_u32_e32 v6, s60, v6                                  // 000000009630: 680C0C3C
	buffer_store_dwordx4 v[184:187], v6, s[40:43], 0 idxen     // 000000009634: E07C2000 800AB806
	s_mul_i32 s60, 2, s46                                      // 00000000963C: 923C2E82
	v_add_u32_e32 v6, s60, v6                                  // 000000009640: 680C0C3C
	s_mul_i32 s60, 12, s46                                     // 000000009644: 923C2E8C
	v_add_u32_e32 v6, s60, v6                                  // 000000009648: 680C0C3C
	s_cmp_ge_i32 1, s72                                        // 00000000964C: BF034881
	s_cbranch_scc1 label_1693                                  // 000000009650: BF85007E
	v_mov_b32_e32 v32, v196                                    // 000000009654: 7E4003C4
	v_mov_b32_e32 v33, v197                                    // 000000009658: 7E4203C5
	v_cvt_pkrtz_f16_f32 v188, v32, v33                         // 00000000965C: D29600BC 00024320
	v_mov_b32_e32 v32, v198                                    // 000000009664: 7E4003C6
	v_mov_b32_e32 v33, v199                                    // 000000009668: 7E4203C7
	v_cvt_pkrtz_f16_f32 v189, v32, v33                         // 00000000966C: D29600BD 00024320
	v_mov_b32_e32 v32, v200                                    // 000000009674: 7E4003C8
	v_mov_b32_e32 v33, v201                                    // 000000009678: 7E4203C9
	v_cvt_pkrtz_f16_f32 v190, v32, v33                         // 00000000967C: D29600BE 00024320
	v_mov_b32_e32 v32, v202                                    // 000000009684: 7E4003CA
	v_mov_b32_e32 v33, v203                                    // 000000009688: 7E4203CB
	v_cvt_pkrtz_f16_f32 v191, v32, v33                         // 00000000968C: D29600BF 00024320
	v_mov_b32_e32 v32, v204                                    // 000000009694: 7E4003CC
	v_mov_b32_e32 v33, v205                                    // 000000009698: 7E4203CD
	v_cvt_pkrtz_f16_f32 v192, v32, v33                         // 00000000969C: D29600C0 00024320
	v_mov_b32_e32 v32, v206                                    // 0000000096A4: 7E4003CE
	v_mov_b32_e32 v33, v207                                    // 0000000096A8: 7E4203CF
	v_cvt_pkrtz_f16_f32 v193, v32, v33                         // 0000000096AC: D29600C1 00024320
	v_mov_b32_e32 v32, v208                                    // 0000000096B4: 7E4003D0
	v_mov_b32_e32 v33, v209                                    // 0000000096B8: 7E4203D1
	v_cvt_pkrtz_f16_f32 v194, v32, v33                         // 0000000096BC: D29600C2 00024320
	v_mov_b32_e32 v32, v210                                    // 0000000096C4: 7E4003D2
	v_mov_b32_e32 v33, v211                                    // 0000000096C8: 7E4203D3
	v_cvt_pkrtz_f16_f32 v195, v32, v33                         // 0000000096CC: D29600C3 00024320
	ds_write_b64 v27, v[188:189] offset:8704                   // 0000000096D4: D89A2200 0000BC1B
	ds_write_b64 v27, v[190:191] offset:9248                   // 0000000096DC: D89A2420 0000BE1B
	ds_write_b64 v27, v[192:193] offset:9792                   // 0000000096E4: D89A2640 0000C01B
	ds_write_b64 v27, v[194:195] offset:10336                  // 0000000096EC: D89A2860 0000C21B
	s_waitcnt lgkmcnt(0)                                       // 0000000096F4: BF8CC07F
	s_barrier                                                  // 0000000096F8: BF8A0000
	ds_read_b64 v[188:189], v26 offset:8704                    // 0000000096FC: D8EC2200 BC00001A
	ds_read_b64 v[190:191], v26 offset:8832                    // 000000009704: D8EC2280 BE00001A
	ds_read_b64 v[192:193], v26 offset:8768                    // 00000000970C: D8EC2240 C000001A
	ds_read_b64 v[194:195], v26 offset:8896                    // 000000009714: D8EC22C0 C200001A
	s_waitcnt lgkmcnt(0)                                       // 00000000971C: BF8CC07F
	buffer_store_dwordx4 v[188:191], v6, s[40:43], 0 idxen     // 000000009720: E07C2000 800ABC06
	s_mul_i32 s60, 2, s46                                      // 000000009728: 923C2E82
	v_add_u32_e32 v6, s60, v6                                  // 00000000972C: 680C0C3C
	buffer_store_dwordx4 v[192:195], v6, s[40:43], 0 idxen     // 000000009730: E07C2000 800AC006
	s_mul_i32 s60, 2, s46                                      // 000000009738: 923C2E82
	v_add_u32_e32 v6, s60, v6                                  // 00000000973C: 680C0C3C
	s_mul_i32 s60, 12, s46                                     // 000000009740: 923C2E8C
	v_add_u32_e32 v6, s60, v6                                  // 000000009744: 680C0C3C
	s_cmp_ge_i32 2, s72                                        // 000000009748: BF034882
	s_cbranch_scc1 label_1693                                  // 00000000974C: BF85003F
	v_mov_b32_e32 v32, v212                                    // 000000009750: 7E4003D4
	v_mov_b32_e32 v33, v213                                    // 000000009754: 7E4203D5
	v_cvt_pkrtz_f16_f32 v196, v32, v33                         // 000000009758: D29600C4 00024320
	v_mov_b32_e32 v32, v214                                    // 000000009760: 7E4003D6
	v_mov_b32_e32 v33, v215                                    // 000000009764: 7E4203D7
	v_cvt_pkrtz_f16_f32 v197, v32, v33                         // 000000009768: D29600C5 00024320
	v_mov_b32_e32 v32, v216                                    // 000000009770: 7E4003D8
	v_mov_b32_e32 v33, v217                                    // 000000009774: 7E4203D9
	v_cvt_pkrtz_f16_f32 v198, v32, v33                         // 000000009778: D29600C6 00024320
	v_mov_b32_e32 v32, v218                                    // 000000009780: 7E4003DA
	v_mov_b32_e32 v33, v219                                    // 000000009784: 7E4203DB
	v_cvt_pkrtz_f16_f32 v199, v32, v33                         // 000000009788: D29600C7 00024320
	v_mov_b32_e32 v32, v220                                    // 000000009790: 7E4003DC
	v_mov_b32_e32 v33, v221                                    // 000000009794: 7E4203DD
	v_cvt_pkrtz_f16_f32 v200, v32, v33                         // 000000009798: D29600C8 00024320
	v_mov_b32_e32 v32, v222                                    // 0000000097A0: 7E4003DE
	v_mov_b32_e32 v33, v223                                    // 0000000097A4: 7E4203DF
	v_cvt_pkrtz_f16_f32 v201, v32, v33                         // 0000000097A8: D29600C9 00024320
	v_mov_b32_e32 v32, v224                                    // 0000000097B0: 7E4003E0
	v_mov_b32_e32 v33, v225                                    // 0000000097B4: 7E4203E1
	v_cvt_pkrtz_f16_f32 v202, v32, v33                         // 0000000097B8: D29600CA 00024320
	v_mov_b32_e32 v32, v226                                    // 0000000097C0: 7E4003E2
	v_mov_b32_e32 v33, v227                                    // 0000000097C4: 7E4203E3
	v_cvt_pkrtz_f16_f32 v203, v32, v33                         // 0000000097C8: D29600CB 00024320
	ds_write_b64 v27, v[196:197] offset:17408                  // 0000000097D0: D89A4400 0000C41B
	ds_write_b64 v27, v[198:199] offset:17952                  // 0000000097D8: D89A4620 0000C61B
	ds_write_b64 v27, v[200:201] offset:18496                  // 0000000097E0: D89A4840 0000C81B
	ds_write_b64 v27, v[202:203] offset:19040                  // 0000000097E8: D89A4A60 0000CA1B
	s_waitcnt lgkmcnt(0)                                       // 0000000097F0: BF8CC07F
	s_barrier                                                  // 0000000097F4: BF8A0000
	ds_read_b64 v[196:197], v26 offset:17408                   // 0000000097F8: D8EC4400 C400001A
	ds_read_b64 v[198:199], v26 offset:17536                   // 000000009800: D8EC4480 C600001A
	ds_read_b64 v[200:201], v26 offset:17472                   // 000000009808: D8EC4440 C800001A
	ds_read_b64 v[202:203], v26 offset:17600                   // 000000009810: D8EC44C0 CA00001A
	s_waitcnt lgkmcnt(0)                                       // 000000009818: BF8CC07F
	buffer_store_dwordx4 v[196:199], v6, s[40:43], 0 idxen     // 00000000981C: E07C2000 800AC406
	s_mul_i32 s60, 2, s46                                      // 000000009824: 923C2E82
	v_add_u32_e32 v6, s60, v6                                  // 000000009828: 680C0C3C
	buffer_store_dwordx4 v[200:203], v6, s[40:43], 0 idxen     // 00000000982C: E07C2000 800AC806
	s_mul_i32 s60, 2, s46                                      // 000000009834: 923C2E82
	v_add_u32_e32 v6, s60, v6                                  // 000000009838: 680C0C3C
	s_mul_i32 s60, 12, s46                                     // 00000000983C: 923C2E8C
	v_add_u32_e32 v6, s60, v6                                  // 000000009840: 680C0C3C
	s_cmp_ge_i32 3, s72                                        // 000000009844: BF034883
	s_cbranch_scc1 label_1693                                  // 000000009848: BF850000

000000000000984c <label_1693>:
	s_waitcnt vmcnt(0) expcnt(0) lgkmcnt(0)                    // 00000000984C: BF8C0000
	s_mov_b32 s32, s88                                         // 000000009850: BEA00058
	s_mov_b32 s33, s89                                         // 000000009854: BEA10059
	s_sub_i32 s60, s77, 1                                      // 000000009858: 81BC814D
	s_sub_i32 s2, s60, s2                                      // 00000000985C: 8182023C
	s_addk_i32 s75, 0x1                                        // 000000009860: B74B0001
	s_cmp_lt_i32 s75, s76                                      // 000000009864: BF044C4B
	s_cbranch_scc1 label_00F9                                  // 000000009868: BF85EA5E
	s_endpgm                                                   // 00000000986C: BF810000
